;; amdgpu-corpus repo=ROCm/rocm-examples kind=compiled arch=gfx1030 opt=O3
	.amdgcn_target "amdgcn-amd-amdhsa--gfx1030"
	.amdhsa_code_object_version 6
	.text
	.protected	_Z17helloworld_kernelv  ; -- Begin function _Z17helloworld_kernelv
	.globl	_Z17helloworld_kernelv
	.p2align	8
	.type	_Z17helloworld_kernelv,@function
_Z17helloworld_kernelv:                 ; @_Z17helloworld_kernelv
; %bb.0:
	s_load_dwordx2 s[2:3], s[4:5], 0x50
	v_mbcnt_lo_u32_b32 v30, -1, 0
	v_mov_b32_e32 v2, v0
	v_mov_b32_e32 v0, 0
	;; [unrolled: 1-line block ×3, first 2 shown]
	v_readfirstlane_b32 s0, v30
	v_cmp_eq_u32_e64 s0, s0, v30
	s_and_saveexec_b32 s1, s0
	s_cbranch_execz .LBB0_6
; %bb.1:
	v_mov_b32_e32 v3, 0
	s_mov_b32 s4, exec_lo
	s_waitcnt lgkmcnt(0)
	global_load_dwordx2 v[6:7], v3, s[2:3] offset:24 glc dlc
	s_waitcnt vmcnt(0)
	buffer_gl1_inv
	buffer_gl0_inv
	s_clause 0x1
	global_load_dwordx2 v[0:1], v3, s[2:3] offset:40
	global_load_dwordx2 v[4:5], v3, s[2:3]
	s_waitcnt vmcnt(1)
	v_and_b32_e32 v1, v1, v7
	v_and_b32_e32 v0, v0, v6
	v_mul_lo_u32 v1, v1, 24
	v_mul_hi_u32 v8, v0, 24
	v_mul_lo_u32 v0, v0, 24
	v_add_nc_u32_e32 v1, v8, v1
	s_waitcnt vmcnt(0)
	v_add_co_u32 v0, vcc_lo, v4, v0
	v_add_co_ci_u32_e64 v1, null, v5, v1, vcc_lo
	global_load_dwordx2 v[4:5], v[0:1], off glc dlc
	s_waitcnt vmcnt(0)
	global_atomic_cmpswap_x2 v[0:1], v3, v[4:7], s[2:3] offset:24 glc
	s_waitcnt vmcnt(0)
	buffer_gl1_inv
	buffer_gl0_inv
	v_cmpx_ne_u64_e64 v[0:1], v[6:7]
	s_cbranch_execz .LBB0_5
; %bb.2:
	s_mov_b32 s5, 0
	.p2align	6
.LBB0_3:                                ; =>This Inner Loop Header: Depth=1
	s_sleep 1
	s_clause 0x1
	global_load_dwordx2 v[4:5], v3, s[2:3] offset:40
	global_load_dwordx2 v[8:9], v3, s[2:3]
	v_mov_b32_e32 v7, v1
	v_mov_b32_e32 v6, v0
	s_waitcnt vmcnt(1)
	v_and_b32_e32 v0, v4, v6
	v_and_b32_e32 v4, v5, v7
	s_waitcnt vmcnt(0)
	v_mad_u64_u32 v[0:1], null, v0, 24, v[8:9]
	v_mad_u64_u32 v[4:5], null, v4, 24, v[1:2]
	v_mov_b32_e32 v1, v4
	global_load_dwordx2 v[4:5], v[0:1], off glc dlc
	s_waitcnt vmcnt(0)
	global_atomic_cmpswap_x2 v[0:1], v3, v[4:7], s[2:3] offset:24 glc
	s_waitcnt vmcnt(0)
	buffer_gl1_inv
	buffer_gl0_inv
	v_cmp_eq_u64_e32 vcc_lo, v[0:1], v[6:7]
	s_or_b32 s5, vcc_lo, s5
	s_andn2_b32 exec_lo, exec_lo, s5
	s_cbranch_execnz .LBB0_3
; %bb.4:
	s_or_b32 exec_lo, exec_lo, s5
.LBB0_5:
	s_or_b32 exec_lo, exec_lo, s4
.LBB0_6:
	s_or_b32 exec_lo, exec_lo, s1
	v_mov_b32_e32 v8, 0
	v_readfirstlane_b32 s5, v1
	v_readfirstlane_b32 s4, v0
	s_mov_b32 s1, exec_lo
	s_waitcnt lgkmcnt(0)
	s_clause 0x1
	global_load_dwordx2 v[9:10], v8, s[2:3] offset:40
	global_load_dwordx4 v[3:6], v8, s[2:3]
	s_waitcnt vmcnt(1)
	v_readfirstlane_b32 s8, v9
	v_readfirstlane_b32 s9, v10
	s_and_b64 s[8:9], s[8:9], s[4:5]
	s_mul_i32 s7, s9, 24
	s_mul_hi_u32 s10, s8, 24
	s_mul_i32 s11, s8, 24
	s_add_i32 s10, s10, s7
	s_waitcnt vmcnt(0)
	v_add_co_u32 v0, vcc_lo, v3, s11
	v_add_co_ci_u32_e64 v1, null, s10, v4, vcc_lo
	s_and_saveexec_b32 s7, s0
	s_cbranch_execz .LBB0_8
; %bb.7:
	v_mov_b32_e32 v7, s1
	v_mov_b32_e32 v9, 2
	;; [unrolled: 1-line block ×3, first 2 shown]
	global_store_dwordx4 v[0:1], v[7:10], off offset:8
.LBB0_8:
	s_or_b32 exec_lo, exec_lo, s7
	s_lshl_b64 s[8:9], s[8:9], 12
	v_lshlrev_b32_e32 v29, 6, v30
	v_add_co_u32 v5, vcc_lo, v5, s8
	v_add_co_ci_u32_e64 v6, null, s9, v6, vcc_lo
	s_mov_b32 s8, 0
	v_add_co_u32 v11, vcc_lo, v5, v29
	s_mov_b32 s11, s8
	s_mov_b32 s9, s8
	s_mov_b32 s10, s8
	v_mov_b32_e32 v7, 33
	v_mov_b32_e32 v9, v8
	;; [unrolled: 1-line block ×3, first 2 shown]
	v_readfirstlane_b32 s12, v5
	v_readfirstlane_b32 s13, v6
	v_mov_b32_e32 v16, s11
	v_add_co_ci_u32_e64 v12, null, 0, v6, vcc_lo
	v_mov_b32_e32 v15, s10
	v_mov_b32_e32 v14, s9
	;; [unrolled: 1-line block ×3, first 2 shown]
	global_store_dwordx4 v29, v[7:10], s[12:13]
	global_store_dwordx4 v29, v[13:16], s[12:13] offset:16
	global_store_dwordx4 v29, v[13:16], s[12:13] offset:32
	;; [unrolled: 1-line block ×3, first 2 shown]
	s_and_saveexec_b32 s1, s0
	s_cbranch_execz .LBB0_15
; %bb.9:
	v_mov_b32_e32 v9, 0
	v_mov_b32_e32 v13, s4
	;; [unrolled: 1-line block ×3, first 2 shown]
	s_mov_b32 s7, exec_lo
	s_clause 0x1
	global_load_dwordx2 v[15:16], v9, s[2:3] offset:32 glc dlc
	global_load_dwordx2 v[5:6], v9, s[2:3] offset:40
	s_waitcnt vmcnt(0)
	v_and_b32_e32 v6, s5, v6
	v_and_b32_e32 v5, s4, v5
	v_mul_lo_u32 v6, v6, 24
	v_mul_hi_u32 v7, v5, 24
	v_mul_lo_u32 v5, v5, 24
	v_add_nc_u32_e32 v6, v7, v6
	v_add_co_u32 v7, vcc_lo, v3, v5
	v_add_co_ci_u32_e64 v8, null, v4, v6, vcc_lo
	global_store_dwordx2 v[7:8], v[15:16], off
	s_waitcnt_vscnt null, 0x0
	global_atomic_cmpswap_x2 v[5:6], v9, v[13:16], s[2:3] offset:32 glc
	s_waitcnt vmcnt(0)
	v_cmpx_ne_u64_e64 v[5:6], v[15:16]
	s_cbranch_execz .LBB0_11
.LBB0_10:                               ; =>This Inner Loop Header: Depth=1
	v_mov_b32_e32 v3, s4
	v_mov_b32_e32 v4, s5
	s_sleep 1
	global_store_dwordx2 v[7:8], v[5:6], off
	s_waitcnt_vscnt null, 0x0
	global_atomic_cmpswap_x2 v[3:4], v9, v[3:6], s[2:3] offset:32 glc
	s_waitcnt vmcnt(0)
	v_cmp_eq_u64_e32 vcc_lo, v[3:4], v[5:6]
	v_mov_b32_e32 v6, v4
	v_mov_b32_e32 v5, v3
	s_or_b32 s8, vcc_lo, s8
	s_andn2_b32 exec_lo, exec_lo, s8
	s_cbranch_execnz .LBB0_10
.LBB0_11:
	s_or_b32 exec_lo, exec_lo, s7
	v_mov_b32_e32 v6, 0
	s_mov_b32 s8, exec_lo
	s_mov_b32 s7, exec_lo
	v_mbcnt_lo_u32_b32 v5, s8, 0
	global_load_dwordx2 v[3:4], v6, s[2:3] offset:16
	v_cmpx_eq_u32_e32 0, v5
	s_cbranch_execz .LBB0_13
; %bb.12:
	s_bcnt1_i32_b32 s8, s8
	v_mov_b32_e32 v5, s8
	s_waitcnt vmcnt(0)
	global_atomic_add_x2 v[3:4], v[5:6], off offset:8
.LBB0_13:
	s_or_b32 exec_lo, exec_lo, s7
	s_waitcnt vmcnt(0)
	global_load_dwordx2 v[5:6], v[3:4], off offset:16
	s_waitcnt vmcnt(0)
	v_cmp_eq_u64_e32 vcc_lo, 0, v[5:6]
	s_cbranch_vccnz .LBB0_15
; %bb.14:
	global_load_dword v3, v[3:4], off offset:24
	v_mov_b32_e32 v4, 0
	s_waitcnt vmcnt(0)
	v_readfirstlane_b32 s7, v3
	s_waitcnt_vscnt null, 0x0
	global_store_dwordx2 v[5:6], v[3:4], off
	s_and_b32 m0, s7, 0x7fffff
	s_sendmsg sendmsg(MSG_INTERRUPT)
.LBB0_15:
	s_or_b32 exec_lo, exec_lo, s1
	s_branch .LBB0_19
	.p2align	6
.LBB0_16:                               ;   in Loop: Header=BB0_19 Depth=1
	s_or_b32 exec_lo, exec_lo, s1
	v_readfirstlane_b32 s1, v3
	s_cmp_eq_u32 s1, 0
	s_cbranch_scc1 .LBB0_18
; %bb.17:                               ;   in Loop: Header=BB0_19 Depth=1
	s_sleep 1
	s_cbranch_execnz .LBB0_19
	s_branch .LBB0_21
	.p2align	6
.LBB0_18:
	s_branch .LBB0_21
.LBB0_19:                               ; =>This Inner Loop Header: Depth=1
	v_mov_b32_e32 v3, 1
	s_and_saveexec_b32 s1, s0
	s_cbranch_execz .LBB0_16
; %bb.20:                               ;   in Loop: Header=BB0_19 Depth=1
	global_load_dword v3, v[0:1], off offset:20 glc dlc
	s_waitcnt vmcnt(0)
	buffer_gl1_inv
	buffer_gl0_inv
	v_and_b32_e32 v3, 1, v3
	s_branch .LBB0_16
.LBB0_21:
	global_load_dwordx2 v[3:4], v[11:12], off
	s_and_saveexec_b32 s7, s0
	s_cbranch_execz .LBB0_25
; %bb.22:
	v_mov_b32_e32 v9, 0
	s_clause 0x2
	global_load_dwordx2 v[0:1], v9, s[2:3] offset:40
	global_load_dwordx2 v[12:13], v9, s[2:3] offset:24 glc dlc
	global_load_dwordx2 v[5:6], v9, s[2:3]
	s_waitcnt vmcnt(2)
	v_readfirstlane_b32 s8, v0
	v_readfirstlane_b32 s9, v1
	s_add_u32 s10, s8, 1
	s_addc_u32 s11, s9, 0
	s_add_u32 s0, s10, s4
	s_addc_u32 s1, s11, s5
	s_cmp_eq_u64 s[0:1], 0
	s_cselect_b32 s1, s11, s1
	s_cselect_b32 s0, s10, s0
	v_mov_b32_e32 v11, s1
	s_and_b64 s[4:5], s[0:1], s[8:9]
	v_mov_b32_e32 v10, s0
	s_mul_i32 s5, s5, 24
	s_mul_hi_u32 s8, s4, 24
	s_mul_i32 s4, s4, 24
	s_add_i32 s8, s8, s5
	s_waitcnt vmcnt(0)
	v_add_co_u32 v0, vcc_lo, v5, s4
	v_add_co_ci_u32_e64 v1, null, s8, v6, vcc_lo
	global_store_dwordx2 v[0:1], v[12:13], off
	s_waitcnt_vscnt null, 0x0
	global_atomic_cmpswap_x2 v[7:8], v9, v[10:13], s[2:3] offset:24 glc
	s_waitcnt vmcnt(0)
	v_cmp_ne_u64_e32 vcc_lo, v[7:8], v[12:13]
	s_and_b32 exec_lo, exec_lo, vcc_lo
	s_cbranch_execz .LBB0_25
; %bb.23:
	s_mov_b32 s4, 0
.LBB0_24:                               ; =>This Inner Loop Header: Depth=1
	v_mov_b32_e32 v5, s0
	v_mov_b32_e32 v6, s1
	s_sleep 1
	global_store_dwordx2 v[0:1], v[7:8], off
	s_waitcnt_vscnt null, 0x0
	global_atomic_cmpswap_x2 v[5:6], v9, v[5:8], s[2:3] offset:24 glc
	s_waitcnt vmcnt(0)
	v_cmp_eq_u64_e32 vcc_lo, v[5:6], v[7:8]
	v_mov_b32_e32 v8, v6
	v_mov_b32_e32 v7, v5
	s_or_b32 s4, vcc_lo, s4
	s_andn2_b32 exec_lo, exec_lo, s4
	s_cbranch_execnz .LBB0_24
.LBB0_25:
	s_or_b32 exec_lo, exec_lo, s7
	s_getpc_b64 s[4:5]
	s_add_u32 s4, s4, .str@rel32@lo+4
	s_addc_u32 s5, s5, .str@rel32@hi+12
	s_cmp_lg_u64 s[4:5], 0
	s_cbranch_scc0 .LBB0_104
; %bb.26:
	s_waitcnt vmcnt(0)
	v_and_b32_e32 v9, -3, v3
	v_mov_b32_e32 v10, v4
	v_mov_b32_e32 v6, 0
	;; [unrolled: 1-line block ×4, first 2 shown]
	s_mov_b64 s[8:9], 34
	s_branch .LBB0_28
.LBB0_27:                               ;   in Loop: Header=BB0_28 Depth=1
	s_or_b32 exec_lo, exec_lo, s7
	s_sub_u32 s8, s8, s10
	s_subb_u32 s9, s9, s11
	s_add_u32 s4, s4, s10
	s_addc_u32 s5, s5, s11
	s_cmp_lg_u64 s[8:9], 0
	s_cbranch_scc0 .LBB0_103
.LBB0_28:                               ; =>This Loop Header: Depth=1
                                        ;     Child Loop BB0_31 Depth 2
                                        ;     Child Loop BB0_38 Depth 2
	;; [unrolled: 1-line block ×11, first 2 shown]
	v_cmp_lt_u64_e64 s0, s[8:9], 56
	v_cmp_gt_u64_e64 s7, s[8:9], 7
	s_and_b32 s0, s0, exec_lo
	s_cselect_b32 s11, s9, 0
	s_cselect_b32 s10, s8, 56
	s_add_u32 s0, s4, 8
	s_addc_u32 s1, s5, 0
	s_and_b32 vcc_lo, exec_lo, s7
	s_cbranch_vccnz .LBB0_33
; %bb.29:                               ;   in Loop: Header=BB0_28 Depth=1
	s_waitcnt vmcnt(0)
	v_mov_b32_e32 v11, 0
	v_mov_b32_e32 v12, 0
	s_cmp_eq_u64 s[8:9], 0
	s_cbranch_scc1 .LBB0_32
; %bb.30:                               ;   in Loop: Header=BB0_28 Depth=1
	s_lshl_b64 s[0:1], s[10:11], 3
	s_mov_b64 s[12:13], 0
	s_mov_b64 s[14:15], s[4:5]
.LBB0_31:                               ;   Parent Loop BB0_28 Depth=1
                                        ; =>  This Inner Loop Header: Depth=2
	global_load_ubyte v0, v6, s[14:15]
	s_waitcnt vmcnt(0)
	v_and_b32_e32 v5, 0xffff, v0
	v_lshlrev_b64 v[0:1], s12, v[5:6]
	s_add_u32 s12, s12, 8
	s_addc_u32 s13, s13, 0
	s_add_u32 s14, s14, 1
	s_addc_u32 s15, s15, 0
	s_cmp_lg_u32 s0, s12
	v_or_b32_e32 v11, v0, v11
	v_or_b32_e32 v12, v1, v12
	s_cbranch_scc1 .LBB0_31
.LBB0_32:                               ;   in Loop: Header=BB0_28 Depth=1
	s_mov_b64 s[0:1], s[4:5]
	s_mov_b32 s7, 0
	s_cbranch_execz .LBB0_34
	s_branch .LBB0_35
.LBB0_33:                               ;   in Loop: Header=BB0_28 Depth=1
	s_mov_b32 s7, 0
.LBB0_34:                               ;   in Loop: Header=BB0_28 Depth=1
	global_load_dwordx2 v[11:12], v6, s[4:5]
	s_add_i32 s7, s10, -8
.LBB0_35:                               ;   in Loop: Header=BB0_28 Depth=1
	s_add_u32 s12, s0, 8
	s_addc_u32 s13, s1, 0
	s_cmp_gt_u32 s7, 7
	s_cbranch_scc1 .LBB0_40
; %bb.36:                               ;   in Loop: Header=BB0_28 Depth=1
	v_mov_b32_e32 v13, 0
	v_mov_b32_e32 v14, 0
	s_cmp_eq_u32 s7, 0
	s_cbranch_scc1 .LBB0_39
; %bb.37:                               ;   in Loop: Header=BB0_28 Depth=1
	s_mov_b64 s[12:13], 0
	s_mov_b64 s[14:15], 0
.LBB0_38:                               ;   Parent Loop BB0_28 Depth=1
                                        ; =>  This Inner Loop Header: Depth=2
	s_add_u32 s16, s0, s14
	s_addc_u32 s17, s1, s15
	s_add_u32 s14, s14, 1
	global_load_ubyte v0, v6, s[16:17]
	s_addc_u32 s15, s15, 0
	s_waitcnt vmcnt(0)
	v_and_b32_e32 v5, 0xffff, v0
	v_lshlrev_b64 v[0:1], s12, v[5:6]
	s_add_u32 s12, s12, 8
	s_addc_u32 s13, s13, 0
	s_cmp_lg_u32 s7, s14
	v_or_b32_e32 v13, v0, v13
	v_or_b32_e32 v14, v1, v14
	s_cbranch_scc1 .LBB0_38
.LBB0_39:                               ;   in Loop: Header=BB0_28 Depth=1
	s_mov_b64 s[12:13], s[0:1]
	s_mov_b32 s16, 0
	s_cbranch_execz .LBB0_41
	s_branch .LBB0_42
.LBB0_40:                               ;   in Loop: Header=BB0_28 Depth=1
                                        ; implicit-def: $vgpr13_vgpr14
	s_mov_b32 s16, 0
.LBB0_41:                               ;   in Loop: Header=BB0_28 Depth=1
	global_load_dwordx2 v[13:14], v6, s[0:1]
	s_add_i32 s16, s7, -8
.LBB0_42:                               ;   in Loop: Header=BB0_28 Depth=1
	s_add_u32 s0, s12, 8
	s_addc_u32 s1, s13, 0
	s_cmp_gt_u32 s16, 7
	s_cbranch_scc1 .LBB0_47
; %bb.43:                               ;   in Loop: Header=BB0_28 Depth=1
	v_mov_b32_e32 v15, 0
	v_mov_b32_e32 v16, 0
	s_cmp_eq_u32 s16, 0
	s_cbranch_scc1 .LBB0_46
; %bb.44:                               ;   in Loop: Header=BB0_28 Depth=1
	s_mov_b64 s[0:1], 0
	s_mov_b64 s[14:15], 0
.LBB0_45:                               ;   Parent Loop BB0_28 Depth=1
                                        ; =>  This Inner Loop Header: Depth=2
	s_add_u32 s18, s12, s14
	s_addc_u32 s19, s13, s15
	s_add_u32 s14, s14, 1
	global_load_ubyte v0, v6, s[18:19]
	s_addc_u32 s15, s15, 0
	s_waitcnt vmcnt(0)
	v_and_b32_e32 v5, 0xffff, v0
	v_lshlrev_b64 v[0:1], s0, v[5:6]
	s_add_u32 s0, s0, 8
	s_addc_u32 s1, s1, 0
	s_cmp_lg_u32 s16, s14
	v_or_b32_e32 v15, v0, v15
	v_or_b32_e32 v16, v1, v16
	s_cbranch_scc1 .LBB0_45
.LBB0_46:                               ;   in Loop: Header=BB0_28 Depth=1
	s_mov_b64 s[0:1], s[12:13]
	s_mov_b32 s7, 0
	s_cbranch_execz .LBB0_48
	s_branch .LBB0_49
.LBB0_47:                               ;   in Loop: Header=BB0_28 Depth=1
	s_mov_b32 s7, 0
.LBB0_48:                               ;   in Loop: Header=BB0_28 Depth=1
	global_load_dwordx2 v[15:16], v6, s[12:13]
	s_add_i32 s7, s16, -8
.LBB0_49:                               ;   in Loop: Header=BB0_28 Depth=1
	s_add_u32 s12, s0, 8
	s_addc_u32 s13, s1, 0
	s_cmp_gt_u32 s7, 7
	s_cbranch_scc1 .LBB0_54
; %bb.50:                               ;   in Loop: Header=BB0_28 Depth=1
	v_mov_b32_e32 v17, 0
	v_mov_b32_e32 v18, 0
	s_cmp_eq_u32 s7, 0
	s_cbranch_scc1 .LBB0_53
; %bb.51:                               ;   in Loop: Header=BB0_28 Depth=1
	s_mov_b64 s[12:13], 0
	s_mov_b64 s[14:15], 0
.LBB0_52:                               ;   Parent Loop BB0_28 Depth=1
                                        ; =>  This Inner Loop Header: Depth=2
	s_add_u32 s16, s0, s14
	s_addc_u32 s17, s1, s15
	s_add_u32 s14, s14, 1
	global_load_ubyte v0, v6, s[16:17]
	s_addc_u32 s15, s15, 0
	s_waitcnt vmcnt(0)
	v_and_b32_e32 v5, 0xffff, v0
	v_lshlrev_b64 v[0:1], s12, v[5:6]
	s_add_u32 s12, s12, 8
	s_addc_u32 s13, s13, 0
	s_cmp_lg_u32 s7, s14
	v_or_b32_e32 v17, v0, v17
	v_or_b32_e32 v18, v1, v18
	s_cbranch_scc1 .LBB0_52
.LBB0_53:                               ;   in Loop: Header=BB0_28 Depth=1
	s_mov_b64 s[12:13], s[0:1]
	s_mov_b32 s16, 0
	s_cbranch_execz .LBB0_55
	s_branch .LBB0_56
.LBB0_54:                               ;   in Loop: Header=BB0_28 Depth=1
                                        ; implicit-def: $vgpr17_vgpr18
	s_mov_b32 s16, 0
.LBB0_55:                               ;   in Loop: Header=BB0_28 Depth=1
	global_load_dwordx2 v[17:18], v6, s[0:1]
	s_add_i32 s16, s7, -8
.LBB0_56:                               ;   in Loop: Header=BB0_28 Depth=1
	s_add_u32 s0, s12, 8
	s_addc_u32 s1, s13, 0
	s_cmp_gt_u32 s16, 7
	s_cbranch_scc1 .LBB0_61
; %bb.57:                               ;   in Loop: Header=BB0_28 Depth=1
	v_mov_b32_e32 v19, 0
	v_mov_b32_e32 v20, 0
	s_cmp_eq_u32 s16, 0
	s_cbranch_scc1 .LBB0_60
; %bb.58:                               ;   in Loop: Header=BB0_28 Depth=1
	s_mov_b64 s[0:1], 0
	s_mov_b64 s[14:15], 0
.LBB0_59:                               ;   Parent Loop BB0_28 Depth=1
                                        ; =>  This Inner Loop Header: Depth=2
	s_add_u32 s18, s12, s14
	s_addc_u32 s19, s13, s15
	s_add_u32 s14, s14, 1
	global_load_ubyte v0, v6, s[18:19]
	s_addc_u32 s15, s15, 0
	s_waitcnt vmcnt(0)
	v_and_b32_e32 v5, 0xffff, v0
	v_lshlrev_b64 v[0:1], s0, v[5:6]
	s_add_u32 s0, s0, 8
	s_addc_u32 s1, s1, 0
	s_cmp_lg_u32 s16, s14
	v_or_b32_e32 v19, v0, v19
	v_or_b32_e32 v20, v1, v20
	s_cbranch_scc1 .LBB0_59
.LBB0_60:                               ;   in Loop: Header=BB0_28 Depth=1
	s_mov_b64 s[0:1], s[12:13]
	s_mov_b32 s7, 0
	s_cbranch_execz .LBB0_62
	s_branch .LBB0_63
.LBB0_61:                               ;   in Loop: Header=BB0_28 Depth=1
	s_mov_b32 s7, 0
.LBB0_62:                               ;   in Loop: Header=BB0_28 Depth=1
	global_load_dwordx2 v[19:20], v6, s[12:13]
	s_add_i32 s7, s16, -8
.LBB0_63:                               ;   in Loop: Header=BB0_28 Depth=1
	s_add_u32 s12, s0, 8
	s_addc_u32 s13, s1, 0
	s_cmp_gt_u32 s7, 7
	s_cbranch_scc1 .LBB0_68
; %bb.64:                               ;   in Loop: Header=BB0_28 Depth=1
	v_mov_b32_e32 v21, 0
	v_mov_b32_e32 v22, 0
	s_cmp_eq_u32 s7, 0
	s_cbranch_scc1 .LBB0_67
; %bb.65:                               ;   in Loop: Header=BB0_28 Depth=1
	s_mov_b64 s[12:13], 0
	s_mov_b64 s[14:15], 0
.LBB0_66:                               ;   Parent Loop BB0_28 Depth=1
                                        ; =>  This Inner Loop Header: Depth=2
	s_add_u32 s16, s0, s14
	s_addc_u32 s17, s1, s15
	s_add_u32 s14, s14, 1
	global_load_ubyte v0, v6, s[16:17]
	s_addc_u32 s15, s15, 0
	s_waitcnt vmcnt(0)
	v_and_b32_e32 v5, 0xffff, v0
	v_lshlrev_b64 v[0:1], s12, v[5:6]
	s_add_u32 s12, s12, 8
	s_addc_u32 s13, s13, 0
	s_cmp_lg_u32 s7, s14
	v_or_b32_e32 v21, v0, v21
	v_or_b32_e32 v22, v1, v22
	s_cbranch_scc1 .LBB0_66
.LBB0_67:                               ;   in Loop: Header=BB0_28 Depth=1
	s_mov_b64 s[12:13], s[0:1]
	s_mov_b32 s16, 0
	s_cbranch_execz .LBB0_69
	s_branch .LBB0_70
.LBB0_68:                               ;   in Loop: Header=BB0_28 Depth=1
                                        ; implicit-def: $vgpr21_vgpr22
	s_mov_b32 s16, 0
.LBB0_69:                               ;   in Loop: Header=BB0_28 Depth=1
	global_load_dwordx2 v[21:22], v6, s[0:1]
	s_add_i32 s16, s7, -8
.LBB0_70:                               ;   in Loop: Header=BB0_28 Depth=1
	s_cmp_gt_u32 s16, 7
	s_cbranch_scc1 .LBB0_75
; %bb.71:                               ;   in Loop: Header=BB0_28 Depth=1
	v_mov_b32_e32 v23, 0
	v_mov_b32_e32 v24, 0
	s_cmp_eq_u32 s16, 0
	s_cbranch_scc1 .LBB0_74
; %bb.72:                               ;   in Loop: Header=BB0_28 Depth=1
	s_mov_b64 s[0:1], 0
	s_mov_b64 s[14:15], s[12:13]
.LBB0_73:                               ;   Parent Loop BB0_28 Depth=1
                                        ; =>  This Inner Loop Header: Depth=2
	global_load_ubyte v0, v6, s[14:15]
	s_add_i32 s16, s16, -1
	s_waitcnt vmcnt(0)
	v_and_b32_e32 v5, 0xffff, v0
	v_lshlrev_b64 v[0:1], s0, v[5:6]
	s_add_u32 s0, s0, 8
	s_addc_u32 s1, s1, 0
	s_add_u32 s14, s14, 1
	s_addc_u32 s15, s15, 0
	s_cmp_lg_u32 s16, 0
	v_or_b32_e32 v23, v0, v23
	v_or_b32_e32 v24, v1, v24
	s_cbranch_scc1 .LBB0_73
.LBB0_74:                               ;   in Loop: Header=BB0_28 Depth=1
	s_cbranch_execz .LBB0_76
	s_branch .LBB0_77
.LBB0_75:                               ;   in Loop: Header=BB0_28 Depth=1
.LBB0_76:                               ;   in Loop: Header=BB0_28 Depth=1
	global_load_dwordx2 v[23:24], v6, s[12:13]
.LBB0_77:                               ;   in Loop: Header=BB0_28 Depth=1
	v_readfirstlane_b32 s0, v30
	v_mov_b32_e32 v0, 0
	v_mov_b32_e32 v1, 0
	v_cmp_eq_u32_e64 s0, s0, v30
	s_and_saveexec_b32 s1, s0
	s_cbranch_execz .LBB0_83
; %bb.78:                               ;   in Loop: Header=BB0_28 Depth=1
	global_load_dwordx2 v[27:28], v6, s[2:3] offset:24 glc dlc
	s_waitcnt vmcnt(0)
	buffer_gl1_inv
	buffer_gl0_inv
	s_clause 0x1
	global_load_dwordx2 v[0:1], v6, s[2:3] offset:40
	global_load_dwordx2 v[25:26], v6, s[2:3]
	s_mov_b32 s7, exec_lo
	s_waitcnt vmcnt(1)
	v_and_b32_e32 v1, v1, v28
	v_and_b32_e32 v0, v0, v27
	v_mul_lo_u32 v1, v1, 24
	v_mul_hi_u32 v5, v0, 24
	v_mul_lo_u32 v0, v0, 24
	v_add_nc_u32_e32 v1, v5, v1
	s_waitcnt vmcnt(0)
	v_add_co_u32 v0, vcc_lo, v25, v0
	v_add_co_ci_u32_e64 v1, null, v26, v1, vcc_lo
	global_load_dwordx2 v[25:26], v[0:1], off glc dlc
	s_waitcnt vmcnt(0)
	global_atomic_cmpswap_x2 v[0:1], v6, v[25:28], s[2:3] offset:24 glc
	s_waitcnt vmcnt(0)
	buffer_gl1_inv
	buffer_gl0_inv
	v_cmpx_ne_u64_e64 v[0:1], v[27:28]
	s_cbranch_execz .LBB0_82
; %bb.79:                               ;   in Loop: Header=BB0_28 Depth=1
	s_mov_b32 s12, 0
	.p2align	6
.LBB0_80:                               ;   Parent Loop BB0_28 Depth=1
                                        ; =>  This Inner Loop Header: Depth=2
	s_sleep 1
	s_clause 0x1
	global_load_dwordx2 v[25:26], v6, s[2:3] offset:40
	global_load_dwordx2 v[31:32], v6, s[2:3]
	v_mov_b32_e32 v28, v1
	v_mov_b32_e32 v27, v0
	s_waitcnt vmcnt(1)
	v_and_b32_e32 v0, v25, v27
	v_and_b32_e32 v5, v26, v28
	s_waitcnt vmcnt(0)
	v_mad_u64_u32 v[0:1], null, v0, 24, v[31:32]
	v_mad_u64_u32 v[25:26], null, v5, 24, v[1:2]
	v_mov_b32_e32 v1, v25
	global_load_dwordx2 v[25:26], v[0:1], off glc dlc
	s_waitcnt vmcnt(0)
	global_atomic_cmpswap_x2 v[0:1], v6, v[25:28], s[2:3] offset:24 glc
	s_waitcnt vmcnt(0)
	buffer_gl1_inv
	buffer_gl0_inv
	v_cmp_eq_u64_e32 vcc_lo, v[0:1], v[27:28]
	s_or_b32 s12, vcc_lo, s12
	s_andn2_b32 exec_lo, exec_lo, s12
	s_cbranch_execnz .LBB0_80
; %bb.81:                               ;   in Loop: Header=BB0_28 Depth=1
	s_or_b32 exec_lo, exec_lo, s12
.LBB0_82:                               ;   in Loop: Header=BB0_28 Depth=1
	s_or_b32 exec_lo, exec_lo, s7
.LBB0_83:                               ;   in Loop: Header=BB0_28 Depth=1
	s_or_b32 exec_lo, exec_lo, s1
	s_clause 0x1
	global_load_dwordx2 v[31:32], v6, s[2:3] offset:40
	global_load_dwordx4 v[25:28], v6, s[2:3]
	v_readfirstlane_b32 s13, v1
	v_readfirstlane_b32 s12, v0
	s_mov_b32 s1, exec_lo
	s_waitcnt vmcnt(1)
	v_readfirstlane_b32 s14, v31
	v_readfirstlane_b32 s15, v32
	s_and_b64 s[14:15], s[14:15], s[12:13]
	s_mul_i32 s7, s15, 24
	s_mul_hi_u32 s16, s14, 24
	s_mul_i32 s17, s14, 24
	s_add_i32 s16, s16, s7
	s_waitcnt vmcnt(0)
	v_add_co_u32 v0, vcc_lo, v25, s17
	v_add_co_ci_u32_e64 v1, null, s16, v26, vcc_lo
	s_and_saveexec_b32 s7, s0
	s_cbranch_execz .LBB0_85
; %bb.84:                               ;   in Loop: Header=BB0_28 Depth=1
	v_mov_b32_e32 v5, s1
	global_store_dwordx4 v[0:1], v[5:8], off offset:8
.LBB0_85:                               ;   in Loop: Header=BB0_28 Depth=1
	s_or_b32 exec_lo, exec_lo, s7
	v_cmp_gt_u64_e64 s1, s[8:9], 56
	s_lshl_b64 s[14:15], s[14:15], 12
	v_and_b32_e32 v5, 0xffffff1f, v9
	v_add_co_u32 v27, vcc_lo, v27, s14
	v_add_co_ci_u32_e64 v28, null, s15, v28, vcc_lo
	s_and_b32 s1, s1, exec_lo
	s_cselect_b32 s1, 0, 2
	s_lshl_b32 s7, s10, 2
	v_or_b32_e32 v5, s1, v5
	v_readfirstlane_b32 s14, v27
	v_readfirstlane_b32 s15, v28
	s_add_i32 s7, s7, 28
	v_and_or_b32 v9, 0x1e0, s7, v5
	global_store_dwordx4 v29, v[13:16], s[14:15] offset:16
	global_store_dwordx4 v29, v[17:20], s[14:15] offset:32
	global_store_dwordx4 v29, v[9:12], s[14:15]
	global_store_dwordx4 v29, v[21:24], s[14:15] offset:48
	s_and_saveexec_b32 s1, s0
	s_cbranch_execz .LBB0_93
; %bb.86:                               ;   in Loop: Header=BB0_28 Depth=1
	s_clause 0x1
	global_load_dwordx2 v[17:18], v6, s[2:3] offset:32 glc dlc
	global_load_dwordx2 v[9:10], v6, s[2:3] offset:40
	v_mov_b32_e32 v15, s12
	v_mov_b32_e32 v16, s13
	s_waitcnt vmcnt(0)
	v_readfirstlane_b32 s14, v9
	v_readfirstlane_b32 s15, v10
	s_and_b64 s[14:15], s[14:15], s[12:13]
	s_mul_i32 s7, s15, 24
	s_mul_hi_u32 s15, s14, 24
	s_mul_i32 s14, s14, 24
	s_add_i32 s15, s15, s7
	v_add_co_u32 v13, vcc_lo, v25, s14
	v_add_co_ci_u32_e64 v14, null, s15, v26, vcc_lo
	s_mov_b32 s7, exec_lo
	global_store_dwordx2 v[13:14], v[17:18], off
	s_waitcnt_vscnt null, 0x0
	global_atomic_cmpswap_x2 v[11:12], v6, v[15:18], s[2:3] offset:32 glc
	s_waitcnt vmcnt(0)
	v_cmpx_ne_u64_e64 v[11:12], v[17:18]
	s_cbranch_execz .LBB0_89
; %bb.87:                               ;   in Loop: Header=BB0_28 Depth=1
	s_mov_b32 s14, 0
.LBB0_88:                               ;   Parent Loop BB0_28 Depth=1
                                        ; =>  This Inner Loop Header: Depth=2
	v_mov_b32_e32 v9, s12
	v_mov_b32_e32 v10, s13
	s_sleep 1
	global_store_dwordx2 v[13:14], v[11:12], off
	s_waitcnt_vscnt null, 0x0
	global_atomic_cmpswap_x2 v[9:10], v6, v[9:12], s[2:3] offset:32 glc
	s_waitcnt vmcnt(0)
	v_cmp_eq_u64_e32 vcc_lo, v[9:10], v[11:12]
	v_mov_b32_e32 v12, v10
	v_mov_b32_e32 v11, v9
	s_or_b32 s14, vcc_lo, s14
	s_andn2_b32 exec_lo, exec_lo, s14
	s_cbranch_execnz .LBB0_88
.LBB0_89:                               ;   in Loop: Header=BB0_28 Depth=1
	s_or_b32 exec_lo, exec_lo, s7
	global_load_dwordx2 v[9:10], v6, s[2:3] offset:16
	s_mov_b32 s14, exec_lo
	s_mov_b32 s7, exec_lo
	v_mbcnt_lo_u32_b32 v5, s14, 0
	v_cmpx_eq_u32_e32 0, v5
	s_cbranch_execz .LBB0_91
; %bb.90:                               ;   in Loop: Header=BB0_28 Depth=1
	s_bcnt1_i32_b32 s14, s14
	v_mov_b32_e32 v5, s14
	s_waitcnt vmcnt(0)
	global_atomic_add_x2 v[9:10], v[5:6], off offset:8
.LBB0_91:                               ;   in Loop: Header=BB0_28 Depth=1
	s_or_b32 exec_lo, exec_lo, s7
	s_waitcnt vmcnt(0)
	global_load_dwordx2 v[11:12], v[9:10], off offset:16
	s_waitcnt vmcnt(0)
	v_cmp_eq_u64_e32 vcc_lo, 0, v[11:12]
	s_cbranch_vccnz .LBB0_93
; %bb.92:                               ;   in Loop: Header=BB0_28 Depth=1
	global_load_dword v5, v[9:10], off offset:24
	s_waitcnt vmcnt(0)
	v_readfirstlane_b32 s7, v5
	s_waitcnt_vscnt null, 0x0
	global_store_dwordx2 v[11:12], v[5:6], off
	s_and_b32 m0, s7, 0x7fffff
	s_sendmsg sendmsg(MSG_INTERRUPT)
.LBB0_93:                               ;   in Loop: Header=BB0_28 Depth=1
	s_or_b32 exec_lo, exec_lo, s1
	v_add_co_u32 v9, vcc_lo, v27, v29
	v_add_co_ci_u32_e64 v10, null, 0, v28, vcc_lo
	s_branch .LBB0_97
	.p2align	6
.LBB0_94:                               ;   in Loop: Header=BB0_97 Depth=2
	s_or_b32 exec_lo, exec_lo, s1
	v_readfirstlane_b32 s1, v5
	s_cmp_eq_u32 s1, 0
	s_cbranch_scc1 .LBB0_96
; %bb.95:                               ;   in Loop: Header=BB0_97 Depth=2
	s_sleep 1
	s_cbranch_execnz .LBB0_97
	s_branch .LBB0_99
	.p2align	6
.LBB0_96:                               ;   in Loop: Header=BB0_28 Depth=1
	s_branch .LBB0_99
.LBB0_97:                               ;   Parent Loop BB0_28 Depth=1
                                        ; =>  This Inner Loop Header: Depth=2
	v_mov_b32_e32 v5, 1
	s_and_saveexec_b32 s1, s0
	s_cbranch_execz .LBB0_94
; %bb.98:                               ;   in Loop: Header=BB0_97 Depth=2
	global_load_dword v5, v[0:1], off offset:20 glc dlc
	s_waitcnt vmcnt(0)
	buffer_gl1_inv
	buffer_gl0_inv
	v_and_b32_e32 v5, 1, v5
	s_branch .LBB0_94
.LBB0_99:                               ;   in Loop: Header=BB0_28 Depth=1
	global_load_dwordx4 v[9:12], v[9:10], off
	s_and_saveexec_b32 s7, s0
	s_cbranch_execz .LBB0_27
; %bb.100:                              ;   in Loop: Header=BB0_28 Depth=1
	s_clause 0x2
	global_load_dwordx2 v[0:1], v6, s[2:3] offset:40
	global_load_dwordx2 v[15:16], v6, s[2:3] offset:24 glc dlc
	global_load_dwordx2 v[11:12], v6, s[2:3]
	s_waitcnt vmcnt(2)
	v_readfirstlane_b32 s14, v0
	v_readfirstlane_b32 s15, v1
	s_add_u32 s16, s14, 1
	s_addc_u32 s17, s15, 0
	s_add_u32 s0, s16, s12
	s_addc_u32 s1, s17, s13
	s_cmp_eq_u64 s[0:1], 0
	s_cselect_b32 s1, s17, s1
	s_cselect_b32 s0, s16, s0
	v_mov_b32_e32 v14, s1
	s_and_b64 s[12:13], s[0:1], s[14:15]
	v_mov_b32_e32 v13, s0
	s_mul_i32 s13, s13, 24
	s_mul_hi_u32 s14, s12, 24
	s_mul_i32 s12, s12, 24
	s_add_i32 s14, s14, s13
	s_waitcnt vmcnt(0)
	v_add_co_u32 v0, vcc_lo, v11, s12
	v_add_co_ci_u32_e64 v1, null, s14, v12, vcc_lo
	global_store_dwordx2 v[0:1], v[15:16], off
	s_waitcnt_vscnt null, 0x0
	global_atomic_cmpswap_x2 v[13:14], v6, v[13:16], s[2:3] offset:24 glc
	s_waitcnt vmcnt(0)
	v_cmp_ne_u64_e32 vcc_lo, v[13:14], v[15:16]
	s_and_b32 exec_lo, exec_lo, vcc_lo
	s_cbranch_execz .LBB0_27
; %bb.101:                              ;   in Loop: Header=BB0_28 Depth=1
	s_mov_b32 s12, 0
.LBB0_102:                              ;   Parent Loop BB0_28 Depth=1
                                        ; =>  This Inner Loop Header: Depth=2
	v_mov_b32_e32 v11, s0
	v_mov_b32_e32 v12, s1
	s_sleep 1
	global_store_dwordx2 v[0:1], v[13:14], off
	s_waitcnt_vscnt null, 0x0
	global_atomic_cmpswap_x2 v[11:12], v6, v[11:14], s[2:3] offset:24 glc
	s_waitcnt vmcnt(0)
	v_cmp_eq_u64_e32 vcc_lo, v[11:12], v[13:14]
	v_mov_b32_e32 v14, v12
	v_mov_b32_e32 v13, v11
	s_or_b32 s12, vcc_lo, s12
	s_andn2_b32 exec_lo, exec_lo, s12
	s_cbranch_execnz .LBB0_102
	s_branch .LBB0_27
.LBB0_103:
	s_branch .LBB0_132
.LBB0_104:
	s_cbranch_execz .LBB0_132
; %bb.105:
	v_readfirstlane_b32 s0, v30
	v_mov_b32_e32 v0, 0
	v_mov_b32_e32 v1, 0
	v_cmp_eq_u32_e64 s0, s0, v30
	s_and_saveexec_b32 s1, s0
	s_cbranch_execz .LBB0_111
; %bb.106:
	v_mov_b32_e32 v5, 0
	s_mov_b32 s4, exec_lo
	global_load_dwordx2 v[8:9], v5, s[2:3] offset:24 glc dlc
	s_waitcnt vmcnt(0)
	buffer_gl1_inv
	buffer_gl0_inv
	s_clause 0x1
	global_load_dwordx2 v[0:1], v5, s[2:3] offset:40
	global_load_dwordx2 v[6:7], v5, s[2:3]
	s_waitcnt vmcnt(1)
	v_and_b32_e32 v1, v1, v9
	v_and_b32_e32 v0, v0, v8
	v_mul_lo_u32 v1, v1, 24
	v_mul_hi_u32 v10, v0, 24
	v_mul_lo_u32 v0, v0, 24
	v_add_nc_u32_e32 v1, v10, v1
	s_waitcnt vmcnt(0)
	v_add_co_u32 v0, vcc_lo, v6, v0
	v_add_co_ci_u32_e64 v1, null, v7, v1, vcc_lo
	global_load_dwordx2 v[6:7], v[0:1], off glc dlc
	s_waitcnt vmcnt(0)
	global_atomic_cmpswap_x2 v[0:1], v5, v[6:9], s[2:3] offset:24 glc
	s_waitcnt vmcnt(0)
	buffer_gl1_inv
	buffer_gl0_inv
	v_cmpx_ne_u64_e64 v[0:1], v[8:9]
	s_cbranch_execz .LBB0_110
; %bb.107:
	s_mov_b32 s5, 0
	.p2align	6
.LBB0_108:                              ; =>This Inner Loop Header: Depth=1
	s_sleep 1
	s_clause 0x1
	global_load_dwordx2 v[6:7], v5, s[2:3] offset:40
	global_load_dwordx2 v[10:11], v5, s[2:3]
	v_mov_b32_e32 v9, v1
	v_mov_b32_e32 v8, v0
	s_waitcnt vmcnt(1)
	v_and_b32_e32 v0, v6, v8
	v_and_b32_e32 v6, v7, v9
	s_waitcnt vmcnt(0)
	v_mad_u64_u32 v[0:1], null, v0, 24, v[10:11]
	v_mad_u64_u32 v[6:7], null, v6, 24, v[1:2]
	v_mov_b32_e32 v1, v6
	global_load_dwordx2 v[6:7], v[0:1], off glc dlc
	s_waitcnt vmcnt(0)
	global_atomic_cmpswap_x2 v[0:1], v5, v[6:9], s[2:3] offset:24 glc
	s_waitcnt vmcnt(0)
	buffer_gl1_inv
	buffer_gl0_inv
	v_cmp_eq_u64_e32 vcc_lo, v[0:1], v[8:9]
	s_or_b32 s5, vcc_lo, s5
	s_andn2_b32 exec_lo, exec_lo, s5
	s_cbranch_execnz .LBB0_108
; %bb.109:
	s_or_b32 exec_lo, exec_lo, s5
.LBB0_110:
	s_or_b32 exec_lo, exec_lo, s4
.LBB0_111:
	s_or_b32 exec_lo, exec_lo, s1
	v_mov_b32_e32 v5, 0
	v_readfirstlane_b32 s5, v1
	v_readfirstlane_b32 s4, v0
	s_mov_b32 s1, exec_lo
	s_clause 0x1
	global_load_dwordx2 v[11:12], v5, s[2:3] offset:40
	global_load_dwordx4 v[7:10], v5, s[2:3]
	s_waitcnt vmcnt(1)
	v_readfirstlane_b32 s8, v11
	v_readfirstlane_b32 s9, v12
	s_and_b64 s[8:9], s[8:9], s[4:5]
	s_mul_i32 s7, s9, 24
	s_mul_hi_u32 s10, s8, 24
	s_mul_i32 s11, s8, 24
	s_add_i32 s10, s10, s7
	s_waitcnt vmcnt(0)
	v_add_co_u32 v0, vcc_lo, v7, s11
	v_add_co_ci_u32_e64 v1, null, s10, v8, vcc_lo
	s_and_saveexec_b32 s7, s0
	s_cbranch_execz .LBB0_113
; %bb.112:
	v_mov_b32_e32 v11, s1
	v_mov_b32_e32 v12, v5
	;; [unrolled: 1-line block ×4, first 2 shown]
	global_store_dwordx4 v[0:1], v[11:14], off offset:8
.LBB0_113:
	s_or_b32 exec_lo, exec_lo, s7
	s_lshl_b64 s[8:9], s[8:9], 12
	v_and_or_b32 v3, 0xffffff1d, v3, 34
	v_add_co_u32 v9, vcc_lo, v9, s8
	v_add_co_ci_u32_e64 v10, null, s9, v10, vcc_lo
	s_mov_b32 s8, 0
	v_mov_b32_e32 v6, v5
	s_mov_b32 s11, s8
	s_mov_b32 s9, s8
	;; [unrolled: 1-line block ×3, first 2 shown]
	v_readfirstlane_b32 s12, v9
	v_readfirstlane_b32 s13, v10
	v_mov_b32_e32 v12, s11
	v_mov_b32_e32 v11, s10
	;; [unrolled: 1-line block ×4, first 2 shown]
	global_store_dwordx4 v29, v[3:6], s[12:13]
	global_store_dwordx4 v29, v[9:12], s[12:13] offset:16
	global_store_dwordx4 v29, v[9:12], s[12:13] offset:32
	;; [unrolled: 1-line block ×3, first 2 shown]
	s_and_saveexec_b32 s1, s0
	s_cbranch_execz .LBB0_121
; %bb.114:
	v_mov_b32_e32 v9, 0
	v_mov_b32_e32 v10, s4
	v_mov_b32_e32 v11, s5
	s_clause 0x1
	global_load_dwordx2 v[12:13], v9, s[2:3] offset:32 glc dlc
	global_load_dwordx2 v[3:4], v9, s[2:3] offset:40
	s_waitcnt vmcnt(0)
	v_readfirstlane_b32 s8, v3
	v_readfirstlane_b32 s9, v4
	s_and_b64 s[8:9], s[8:9], s[4:5]
	s_mul_i32 s7, s9, 24
	s_mul_hi_u32 s9, s8, 24
	s_mul_i32 s8, s8, 24
	s_add_i32 s9, s9, s7
	v_add_co_u32 v7, vcc_lo, v7, s8
	v_add_co_ci_u32_e64 v8, null, s9, v8, vcc_lo
	s_mov_b32 s7, exec_lo
	global_store_dwordx2 v[7:8], v[12:13], off
	s_waitcnt_vscnt null, 0x0
	global_atomic_cmpswap_x2 v[5:6], v9, v[10:13], s[2:3] offset:32 glc
	s_waitcnt vmcnt(0)
	v_cmpx_ne_u64_e64 v[5:6], v[12:13]
	s_cbranch_execz .LBB0_117
; %bb.115:
	s_mov_b32 s8, 0
.LBB0_116:                              ; =>This Inner Loop Header: Depth=1
	v_mov_b32_e32 v3, s4
	v_mov_b32_e32 v4, s5
	s_sleep 1
	global_store_dwordx2 v[7:8], v[5:6], off
	s_waitcnt_vscnt null, 0x0
	global_atomic_cmpswap_x2 v[3:4], v9, v[3:6], s[2:3] offset:32 glc
	s_waitcnt vmcnt(0)
	v_cmp_eq_u64_e32 vcc_lo, v[3:4], v[5:6]
	v_mov_b32_e32 v6, v4
	v_mov_b32_e32 v5, v3
	s_or_b32 s8, vcc_lo, s8
	s_andn2_b32 exec_lo, exec_lo, s8
	s_cbranch_execnz .LBB0_116
.LBB0_117:
	s_or_b32 exec_lo, exec_lo, s7
	v_mov_b32_e32 v6, 0
	s_mov_b32 s8, exec_lo
	s_mov_b32 s7, exec_lo
	v_mbcnt_lo_u32_b32 v5, s8, 0
	global_load_dwordx2 v[3:4], v6, s[2:3] offset:16
	v_cmpx_eq_u32_e32 0, v5
	s_cbranch_execz .LBB0_119
; %bb.118:
	s_bcnt1_i32_b32 s8, s8
	v_mov_b32_e32 v5, s8
	s_waitcnt vmcnt(0)
	global_atomic_add_x2 v[3:4], v[5:6], off offset:8
.LBB0_119:
	s_or_b32 exec_lo, exec_lo, s7
	s_waitcnt vmcnt(0)
	global_load_dwordx2 v[5:6], v[3:4], off offset:16
	s_waitcnt vmcnt(0)
	v_cmp_eq_u64_e32 vcc_lo, 0, v[5:6]
	s_cbranch_vccnz .LBB0_121
; %bb.120:
	global_load_dword v3, v[3:4], off offset:24
	v_mov_b32_e32 v4, 0
	s_waitcnt vmcnt(0)
	v_readfirstlane_b32 s7, v3
	s_waitcnt_vscnt null, 0x0
	global_store_dwordx2 v[5:6], v[3:4], off
	s_and_b32 m0, s7, 0x7fffff
	s_sendmsg sendmsg(MSG_INTERRUPT)
.LBB0_121:
	s_or_b32 exec_lo, exec_lo, s1
	s_branch .LBB0_125
	.p2align	6
.LBB0_122:                              ;   in Loop: Header=BB0_125 Depth=1
	s_or_b32 exec_lo, exec_lo, s1
	v_readfirstlane_b32 s1, v3
	s_cmp_eq_u32 s1, 0
	s_cbranch_scc1 .LBB0_124
; %bb.123:                              ;   in Loop: Header=BB0_125 Depth=1
	s_sleep 1
	s_cbranch_execnz .LBB0_125
	s_branch .LBB0_127
	.p2align	6
.LBB0_124:
	s_branch .LBB0_127
.LBB0_125:                              ; =>This Inner Loop Header: Depth=1
	v_mov_b32_e32 v3, 1
	s_and_saveexec_b32 s1, s0
	s_cbranch_execz .LBB0_122
; %bb.126:                              ;   in Loop: Header=BB0_125 Depth=1
	global_load_dword v3, v[0:1], off offset:20 glc dlc
	s_waitcnt vmcnt(0)
	buffer_gl1_inv
	buffer_gl0_inv
	v_and_b32_e32 v3, 1, v3
	s_branch .LBB0_122
.LBB0_127:
	s_and_saveexec_b32 s7, s0
	s_cbranch_execz .LBB0_131
; %bb.128:
	v_mov_b32_e32 v7, 0
	s_clause 0x2
	global_load_dwordx2 v[0:1], v7, s[2:3] offset:40
	global_load_dwordx2 v[10:11], v7, s[2:3] offset:24 glc dlc
	global_load_dwordx2 v[3:4], v7, s[2:3]
	s_waitcnt vmcnt(2)
	v_readfirstlane_b32 s8, v0
	v_readfirstlane_b32 s9, v1
	s_add_u32 s10, s8, 1
	s_addc_u32 s11, s9, 0
	s_add_u32 s0, s10, s4
	s_addc_u32 s1, s11, s5
	s_cmp_eq_u64 s[0:1], 0
	s_cselect_b32 s1, s11, s1
	s_cselect_b32 s0, s10, s0
	v_mov_b32_e32 v9, s1
	s_and_b64 s[4:5], s[0:1], s[8:9]
	v_mov_b32_e32 v8, s0
	s_mul_i32 s5, s5, 24
	s_mul_hi_u32 s8, s4, 24
	s_mul_i32 s4, s4, 24
	s_add_i32 s8, s8, s5
	s_waitcnt vmcnt(0)
	v_add_co_u32 v0, vcc_lo, v3, s4
	v_add_co_ci_u32_e64 v1, null, s8, v4, vcc_lo
	global_store_dwordx2 v[0:1], v[10:11], off
	s_waitcnt_vscnt null, 0x0
	global_atomic_cmpswap_x2 v[5:6], v7, v[8:11], s[2:3] offset:24 glc
	s_waitcnt vmcnt(0)
	v_cmp_ne_u64_e32 vcc_lo, v[5:6], v[10:11]
	s_and_b32 exec_lo, exec_lo, vcc_lo
	s_cbranch_execz .LBB0_131
; %bb.129:
	s_mov_b32 s4, 0
.LBB0_130:                              ; =>This Inner Loop Header: Depth=1
	v_mov_b32_e32 v3, s0
	v_mov_b32_e32 v4, s1
	s_sleep 1
	global_store_dwordx2 v[0:1], v[5:6], off
	s_waitcnt_vscnt null, 0x0
	global_atomic_cmpswap_x2 v[3:4], v7, v[3:6], s[2:3] offset:24 glc
	s_waitcnt vmcnt(0)
	v_cmp_eq_u64_e32 vcc_lo, v[3:4], v[5:6]
	v_mov_b32_e32 v6, v4
	v_mov_b32_e32 v5, v3
	s_or_b32 s4, vcc_lo, s4
	s_andn2_b32 exec_lo, exec_lo, s4
	s_cbranch_execnz .LBB0_130
.LBB0_131:
	s_or_b32 exec_lo, exec_lo, s7
.LBB0_132:
	v_readfirstlane_b32 s0, v30
	v_mov_b32_e32 v0, 0
	v_mov_b32_e32 v1, 0
	v_cmp_eq_u32_e64 s0, s0, v30
	s_and_saveexec_b32 s1, s0
	s_cbranch_execz .LBB0_138
; %bb.133:
	s_waitcnt vmcnt(0)
	v_mov_b32_e32 v3, 0
	s_mov_b32 s4, exec_lo
	global_load_dwordx2 v[6:7], v3, s[2:3] offset:24 glc dlc
	s_waitcnt vmcnt(0)
	buffer_gl1_inv
	buffer_gl0_inv
	s_clause 0x1
	global_load_dwordx2 v[0:1], v3, s[2:3] offset:40
	global_load_dwordx2 v[4:5], v3, s[2:3]
	s_waitcnt vmcnt(1)
	v_and_b32_e32 v1, v1, v7
	v_and_b32_e32 v0, v0, v6
	v_mul_lo_u32 v1, v1, 24
	v_mul_hi_u32 v8, v0, 24
	v_mul_lo_u32 v0, v0, 24
	v_add_nc_u32_e32 v1, v8, v1
	s_waitcnt vmcnt(0)
	v_add_co_u32 v0, vcc_lo, v4, v0
	v_add_co_ci_u32_e64 v1, null, v5, v1, vcc_lo
	global_load_dwordx2 v[4:5], v[0:1], off glc dlc
	s_waitcnt vmcnt(0)
	global_atomic_cmpswap_x2 v[0:1], v3, v[4:7], s[2:3] offset:24 glc
	s_waitcnt vmcnt(0)
	buffer_gl1_inv
	buffer_gl0_inv
	v_cmpx_ne_u64_e64 v[0:1], v[6:7]
	s_cbranch_execz .LBB0_137
; %bb.134:
	s_mov_b32 s5, 0
	.p2align	6
.LBB0_135:                              ; =>This Inner Loop Header: Depth=1
	s_sleep 1
	s_clause 0x1
	global_load_dwordx2 v[4:5], v3, s[2:3] offset:40
	global_load_dwordx2 v[8:9], v3, s[2:3]
	v_mov_b32_e32 v7, v1
	v_mov_b32_e32 v6, v0
	s_waitcnt vmcnt(1)
	v_and_b32_e32 v0, v4, v6
	v_and_b32_e32 v4, v5, v7
	s_waitcnt vmcnt(0)
	v_mad_u64_u32 v[0:1], null, v0, 24, v[8:9]
	v_mad_u64_u32 v[4:5], null, v4, 24, v[1:2]
	v_mov_b32_e32 v1, v4
	global_load_dwordx2 v[4:5], v[0:1], off glc dlc
	s_waitcnt vmcnt(0)
	global_atomic_cmpswap_x2 v[0:1], v3, v[4:7], s[2:3] offset:24 glc
	s_waitcnt vmcnt(0)
	buffer_gl1_inv
	buffer_gl0_inv
	v_cmp_eq_u64_e32 vcc_lo, v[0:1], v[6:7]
	s_or_b32 s5, vcc_lo, s5
	s_andn2_b32 exec_lo, exec_lo, s5
	s_cbranch_execnz .LBB0_135
; %bb.136:
	s_or_b32 exec_lo, exec_lo, s5
.LBB0_137:
	s_or_b32 exec_lo, exec_lo, s4
.LBB0_138:
	s_or_b32 exec_lo, exec_lo, s1
	v_mov_b32_e32 v8, 0
	v_readfirstlane_b32 s5, v1
	v_readfirstlane_b32 s4, v0
	s_mov_b32 s1, exec_lo
	s_clause 0x1
	global_load_dwordx2 v[9:10], v8, s[2:3] offset:40
	global_load_dwordx4 v[3:6], v8, s[2:3]
	s_waitcnt vmcnt(1)
	v_readfirstlane_b32 s8, v9
	v_readfirstlane_b32 s9, v10
	s_and_b64 s[8:9], s[8:9], s[4:5]
	s_mul_i32 s7, s9, 24
	s_mul_hi_u32 s10, s8, 24
	s_mul_i32 s11, s8, 24
	s_add_i32 s10, s10, s7
	s_waitcnt vmcnt(0)
	v_add_co_u32 v0, vcc_lo, v3, s11
	v_add_co_ci_u32_e64 v1, null, s10, v4, vcc_lo
	s_and_saveexec_b32 s7, s0
	s_cbranch_execz .LBB0_140
; %bb.139:
	v_mov_b32_e32 v7, s1
	v_mov_b32_e32 v9, 2
	;; [unrolled: 1-line block ×3, first 2 shown]
	global_store_dwordx4 v[0:1], v[7:10], off offset:8
.LBB0_140:
	s_or_b32 exec_lo, exec_lo, s7
	s_lshl_b64 s[8:9], s[8:9], 12
	v_mov_b32_e32 v7, 33
	v_add_co_u32 v5, vcc_lo, v5, s8
	v_add_co_ci_u32_e64 v6, null, s9, v6, vcc_lo
	s_mov_b32 s8, 0
	v_add_co_u32 v11, vcc_lo, v5, v29
	s_mov_b32 s11, s8
	s_mov_b32 s9, s8
	;; [unrolled: 1-line block ×3, first 2 shown]
	v_mov_b32_e32 v9, v8
	v_mov_b32_e32 v10, v8
	v_readfirstlane_b32 s12, v5
	v_readfirstlane_b32 s13, v6
	v_mov_b32_e32 v16, s11
	v_add_co_ci_u32_e64 v12, null, 0, v6, vcc_lo
	v_mov_b32_e32 v15, s10
	v_mov_b32_e32 v14, s9
	;; [unrolled: 1-line block ×3, first 2 shown]
	global_store_dwordx4 v29, v[7:10], s[12:13]
	global_store_dwordx4 v29, v[13:16], s[12:13] offset:16
	global_store_dwordx4 v29, v[13:16], s[12:13] offset:32
	;; [unrolled: 1-line block ×3, first 2 shown]
	s_and_saveexec_b32 s1, s0
	s_cbranch_execz .LBB0_148
; %bb.141:
	v_mov_b32_e32 v9, 0
	v_mov_b32_e32 v13, s4
	;; [unrolled: 1-line block ×3, first 2 shown]
	s_clause 0x1
	global_load_dwordx2 v[15:16], v9, s[2:3] offset:32 glc dlc
	global_load_dwordx2 v[5:6], v9, s[2:3] offset:40
	s_waitcnt vmcnt(0)
	v_readfirstlane_b32 s8, v5
	v_readfirstlane_b32 s9, v6
	s_and_b64 s[8:9], s[8:9], s[4:5]
	s_mul_i32 s7, s9, 24
	s_mul_hi_u32 s9, s8, 24
	s_mul_i32 s8, s8, 24
	s_add_i32 s9, s9, s7
	v_add_co_u32 v7, vcc_lo, v3, s8
	v_add_co_ci_u32_e64 v8, null, s9, v4, vcc_lo
	s_mov_b32 s7, exec_lo
	global_store_dwordx2 v[7:8], v[15:16], off
	s_waitcnt_vscnt null, 0x0
	global_atomic_cmpswap_x2 v[5:6], v9, v[13:16], s[2:3] offset:32 glc
	s_waitcnt vmcnt(0)
	v_cmpx_ne_u64_e64 v[5:6], v[15:16]
	s_cbranch_execz .LBB0_144
; %bb.142:
	s_mov_b32 s8, 0
.LBB0_143:                              ; =>This Inner Loop Header: Depth=1
	v_mov_b32_e32 v3, s4
	v_mov_b32_e32 v4, s5
	s_sleep 1
	global_store_dwordx2 v[7:8], v[5:6], off
	s_waitcnt_vscnt null, 0x0
	global_atomic_cmpswap_x2 v[3:4], v9, v[3:6], s[2:3] offset:32 glc
	s_waitcnt vmcnt(0)
	v_cmp_eq_u64_e32 vcc_lo, v[3:4], v[5:6]
	v_mov_b32_e32 v6, v4
	v_mov_b32_e32 v5, v3
	s_or_b32 s8, vcc_lo, s8
	s_andn2_b32 exec_lo, exec_lo, s8
	s_cbranch_execnz .LBB0_143
.LBB0_144:
	s_or_b32 exec_lo, exec_lo, s7
	v_mov_b32_e32 v6, 0
	s_mov_b32 s8, exec_lo
	s_mov_b32 s7, exec_lo
	v_mbcnt_lo_u32_b32 v5, s8, 0
	global_load_dwordx2 v[3:4], v6, s[2:3] offset:16
	v_cmpx_eq_u32_e32 0, v5
	s_cbranch_execz .LBB0_146
; %bb.145:
	s_bcnt1_i32_b32 s8, s8
	v_mov_b32_e32 v5, s8
	s_waitcnt vmcnt(0)
	global_atomic_add_x2 v[3:4], v[5:6], off offset:8
.LBB0_146:
	s_or_b32 exec_lo, exec_lo, s7
	s_waitcnt vmcnt(0)
	global_load_dwordx2 v[5:6], v[3:4], off offset:16
	s_waitcnt vmcnt(0)
	v_cmp_eq_u64_e32 vcc_lo, 0, v[5:6]
	s_cbranch_vccnz .LBB0_148
; %bb.147:
	global_load_dword v3, v[3:4], off offset:24
	v_mov_b32_e32 v4, 0
	s_waitcnt vmcnt(0)
	v_readfirstlane_b32 s7, v3
	s_waitcnt_vscnt null, 0x0
	global_store_dwordx2 v[5:6], v[3:4], off
	s_and_b32 m0, s7, 0x7fffff
	s_sendmsg sendmsg(MSG_INTERRUPT)
.LBB0_148:
	s_or_b32 exec_lo, exec_lo, s1
	s_branch .LBB0_152
	.p2align	6
.LBB0_149:                              ;   in Loop: Header=BB0_152 Depth=1
	s_or_b32 exec_lo, exec_lo, s1
	v_readfirstlane_b32 s1, v3
	s_cmp_eq_u32 s1, 0
	s_cbranch_scc1 .LBB0_151
; %bb.150:                              ;   in Loop: Header=BB0_152 Depth=1
	s_sleep 1
	s_cbranch_execnz .LBB0_152
	s_branch .LBB0_154
	.p2align	6
.LBB0_151:
	s_branch .LBB0_154
.LBB0_152:                              ; =>This Inner Loop Header: Depth=1
	v_mov_b32_e32 v3, 1
	s_and_saveexec_b32 s1, s0
	s_cbranch_execz .LBB0_149
; %bb.153:                              ;   in Loop: Header=BB0_152 Depth=1
	global_load_dword v3, v[0:1], off offset:20 glc dlc
	s_waitcnt vmcnt(0)
	buffer_gl1_inv
	buffer_gl0_inv
	v_and_b32_e32 v3, 1, v3
	s_branch .LBB0_149
.LBB0_154:
	global_load_dwordx2 v[3:4], v[11:12], off
	s_and_saveexec_b32 s7, s0
	s_cbranch_execz .LBB0_158
; %bb.155:
	v_mov_b32_e32 v9, 0
	s_clause 0x2
	global_load_dwordx2 v[0:1], v9, s[2:3] offset:40
	global_load_dwordx2 v[12:13], v9, s[2:3] offset:24 glc dlc
	global_load_dwordx2 v[5:6], v9, s[2:3]
	s_waitcnt vmcnt(2)
	v_readfirstlane_b32 s8, v0
	v_readfirstlane_b32 s9, v1
	s_add_u32 s10, s8, 1
	s_addc_u32 s11, s9, 0
	s_add_u32 s0, s10, s4
	s_addc_u32 s1, s11, s5
	s_cmp_eq_u64 s[0:1], 0
	s_cselect_b32 s1, s11, s1
	s_cselect_b32 s0, s10, s0
	v_mov_b32_e32 v11, s1
	s_and_b64 s[4:5], s[0:1], s[8:9]
	v_mov_b32_e32 v10, s0
	s_mul_i32 s5, s5, 24
	s_mul_hi_u32 s8, s4, 24
	s_mul_i32 s4, s4, 24
	s_add_i32 s8, s8, s5
	s_waitcnt vmcnt(0)
	v_add_co_u32 v0, vcc_lo, v5, s4
	v_add_co_ci_u32_e64 v1, null, s8, v6, vcc_lo
	global_store_dwordx2 v[0:1], v[12:13], off
	s_waitcnt_vscnt null, 0x0
	global_atomic_cmpswap_x2 v[7:8], v9, v[10:13], s[2:3] offset:24 glc
	s_waitcnt vmcnt(0)
	v_cmp_ne_u64_e32 vcc_lo, v[7:8], v[12:13]
	s_and_b32 exec_lo, exec_lo, vcc_lo
	s_cbranch_execz .LBB0_158
; %bb.156:
	s_mov_b32 s4, 0
.LBB0_157:                              ; =>This Inner Loop Header: Depth=1
	v_mov_b32_e32 v5, s0
	v_mov_b32_e32 v6, s1
	s_sleep 1
	global_store_dwordx2 v[0:1], v[7:8], off
	s_waitcnt_vscnt null, 0x0
	global_atomic_cmpswap_x2 v[5:6], v9, v[5:8], s[2:3] offset:24 glc
	s_waitcnt vmcnt(0)
	v_cmp_eq_u64_e32 vcc_lo, v[5:6], v[7:8]
	v_mov_b32_e32 v8, v6
	v_mov_b32_e32 v7, v5
	s_or_b32 s4, vcc_lo, s4
	s_andn2_b32 exec_lo, exec_lo, s4
	s_cbranch_execnz .LBB0_157
.LBB0_158:
	s_or_b32 exec_lo, exec_lo, s7
	s_getpc_b64 s[4:5]
	s_add_u32 s4, s4, .str.1@rel32@lo+4
	s_addc_u32 s5, s5, .str.1@rel32@hi+12
	s_cmp_lg_u64 s[4:5], 0
	s_cbranch_scc0 .LBB0_237
; %bb.159:
	s_waitcnt vmcnt(0)
	v_and_b32_e32 v31, 2, v3
	v_mov_b32_e32 v10, 0
	v_and_b32_e32 v5, -3, v3
	v_mov_b32_e32 v6, v4
	v_mov_b32_e32 v11, 2
	;; [unrolled: 1-line block ×3, first 2 shown]
	s_mov_b64 s[8:9], 52
	s_branch .LBB0_161
.LBB0_160:                              ;   in Loop: Header=BB0_161 Depth=1
	s_or_b32 exec_lo, exec_lo, s7
	s_sub_u32 s8, s8, s10
	s_subb_u32 s9, s9, s11
	s_add_u32 s4, s4, s10
	s_addc_u32 s5, s5, s11
	s_cmp_lg_u64 s[8:9], 0
	s_cbranch_scc0 .LBB0_236
.LBB0_161:                              ; =>This Loop Header: Depth=1
                                        ;     Child Loop BB0_164 Depth 2
                                        ;     Child Loop BB0_171 Depth 2
	;; [unrolled: 1-line block ×11, first 2 shown]
	v_cmp_lt_u64_e64 s0, s[8:9], 56
	v_cmp_gt_u64_e64 s7, s[8:9], 7
	s_and_b32 s0, s0, exec_lo
	s_cselect_b32 s11, s9, 0
	s_cselect_b32 s10, s8, 56
	s_add_u32 s0, s4, 8
	s_addc_u32 s1, s5, 0
	s_and_b32 vcc_lo, exec_lo, s7
	s_cbranch_vccnz .LBB0_166
; %bb.162:                              ;   in Loop: Header=BB0_161 Depth=1
	v_mov_b32_e32 v7, 0
	v_mov_b32_e32 v8, 0
	s_cmp_eq_u64 s[8:9], 0
	s_cbranch_scc1 .LBB0_165
; %bb.163:                              ;   in Loop: Header=BB0_161 Depth=1
	s_lshl_b64 s[0:1], s[10:11], 3
	s_mov_b64 s[12:13], 0
	s_mov_b64 s[14:15], s[4:5]
.LBB0_164:                              ;   Parent Loop BB0_161 Depth=1
                                        ; =>  This Inner Loop Header: Depth=2
	global_load_ubyte v0, v10, s[14:15]
	s_waitcnt vmcnt(0)
	v_and_b32_e32 v9, 0xffff, v0
	v_lshlrev_b64 v[0:1], s12, v[9:10]
	s_add_u32 s12, s12, 8
	s_addc_u32 s13, s13, 0
	s_add_u32 s14, s14, 1
	s_addc_u32 s15, s15, 0
	s_cmp_lg_u32 s0, s12
	v_or_b32_e32 v7, v0, v7
	v_or_b32_e32 v8, v1, v8
	s_cbranch_scc1 .LBB0_164
.LBB0_165:                              ;   in Loop: Header=BB0_161 Depth=1
	s_mov_b64 s[0:1], s[4:5]
	s_mov_b32 s7, 0
	s_cbranch_execz .LBB0_167
	s_branch .LBB0_168
.LBB0_166:                              ;   in Loop: Header=BB0_161 Depth=1
	s_mov_b32 s7, 0
.LBB0_167:                              ;   in Loop: Header=BB0_161 Depth=1
	global_load_dwordx2 v[7:8], v10, s[4:5]
	s_add_i32 s7, s10, -8
.LBB0_168:                              ;   in Loop: Header=BB0_161 Depth=1
	s_add_u32 s12, s0, 8
	s_addc_u32 s13, s1, 0
	s_cmp_gt_u32 s7, 7
	s_cbranch_scc1 .LBB0_173
; %bb.169:                              ;   in Loop: Header=BB0_161 Depth=1
	v_mov_b32_e32 v13, 0
	v_mov_b32_e32 v14, 0
	s_cmp_eq_u32 s7, 0
	s_cbranch_scc1 .LBB0_172
; %bb.170:                              ;   in Loop: Header=BB0_161 Depth=1
	s_mov_b64 s[12:13], 0
	s_mov_b64 s[14:15], 0
.LBB0_171:                              ;   Parent Loop BB0_161 Depth=1
                                        ; =>  This Inner Loop Header: Depth=2
	s_add_u32 s16, s0, s14
	s_addc_u32 s17, s1, s15
	s_add_u32 s14, s14, 1
	global_load_ubyte v0, v10, s[16:17]
	s_addc_u32 s15, s15, 0
	s_waitcnt vmcnt(0)
	v_and_b32_e32 v9, 0xffff, v0
	v_lshlrev_b64 v[0:1], s12, v[9:10]
	s_add_u32 s12, s12, 8
	s_addc_u32 s13, s13, 0
	s_cmp_lg_u32 s7, s14
	v_or_b32_e32 v13, v0, v13
	v_or_b32_e32 v14, v1, v14
	s_cbranch_scc1 .LBB0_171
.LBB0_172:                              ;   in Loop: Header=BB0_161 Depth=1
	s_mov_b64 s[12:13], s[0:1]
	s_mov_b32 s16, 0
	s_cbranch_execz .LBB0_174
	s_branch .LBB0_175
.LBB0_173:                              ;   in Loop: Header=BB0_161 Depth=1
                                        ; implicit-def: $vgpr13_vgpr14
	s_mov_b32 s16, 0
.LBB0_174:                              ;   in Loop: Header=BB0_161 Depth=1
	global_load_dwordx2 v[13:14], v10, s[0:1]
	s_add_i32 s16, s7, -8
.LBB0_175:                              ;   in Loop: Header=BB0_161 Depth=1
	s_add_u32 s0, s12, 8
	s_addc_u32 s1, s13, 0
	s_cmp_gt_u32 s16, 7
	s_cbranch_scc1 .LBB0_180
; %bb.176:                              ;   in Loop: Header=BB0_161 Depth=1
	v_mov_b32_e32 v15, 0
	v_mov_b32_e32 v16, 0
	s_cmp_eq_u32 s16, 0
	s_cbranch_scc1 .LBB0_179
; %bb.177:                              ;   in Loop: Header=BB0_161 Depth=1
	s_mov_b64 s[0:1], 0
	s_mov_b64 s[14:15], 0
.LBB0_178:                              ;   Parent Loop BB0_161 Depth=1
                                        ; =>  This Inner Loop Header: Depth=2
	s_add_u32 s18, s12, s14
	s_addc_u32 s19, s13, s15
	s_add_u32 s14, s14, 1
	global_load_ubyte v0, v10, s[18:19]
	s_addc_u32 s15, s15, 0
	s_waitcnt vmcnt(0)
	v_and_b32_e32 v9, 0xffff, v0
	v_lshlrev_b64 v[0:1], s0, v[9:10]
	s_add_u32 s0, s0, 8
	s_addc_u32 s1, s1, 0
	s_cmp_lg_u32 s16, s14
	v_or_b32_e32 v15, v0, v15
	v_or_b32_e32 v16, v1, v16
	s_cbranch_scc1 .LBB0_178
.LBB0_179:                              ;   in Loop: Header=BB0_161 Depth=1
	s_mov_b64 s[0:1], s[12:13]
	s_mov_b32 s7, 0
	s_cbranch_execz .LBB0_181
	s_branch .LBB0_182
.LBB0_180:                              ;   in Loop: Header=BB0_161 Depth=1
	s_mov_b32 s7, 0
.LBB0_181:                              ;   in Loop: Header=BB0_161 Depth=1
	global_load_dwordx2 v[15:16], v10, s[12:13]
	s_add_i32 s7, s16, -8
.LBB0_182:                              ;   in Loop: Header=BB0_161 Depth=1
	s_add_u32 s12, s0, 8
	s_addc_u32 s13, s1, 0
	s_cmp_gt_u32 s7, 7
	s_cbranch_scc1 .LBB0_187
; %bb.183:                              ;   in Loop: Header=BB0_161 Depth=1
	v_mov_b32_e32 v17, 0
	v_mov_b32_e32 v18, 0
	s_cmp_eq_u32 s7, 0
	s_cbranch_scc1 .LBB0_186
; %bb.184:                              ;   in Loop: Header=BB0_161 Depth=1
	s_mov_b64 s[12:13], 0
	s_mov_b64 s[14:15], 0
.LBB0_185:                              ;   Parent Loop BB0_161 Depth=1
                                        ; =>  This Inner Loop Header: Depth=2
	s_add_u32 s16, s0, s14
	s_addc_u32 s17, s1, s15
	s_add_u32 s14, s14, 1
	global_load_ubyte v0, v10, s[16:17]
	s_addc_u32 s15, s15, 0
	s_waitcnt vmcnt(0)
	v_and_b32_e32 v9, 0xffff, v0
	v_lshlrev_b64 v[0:1], s12, v[9:10]
	s_add_u32 s12, s12, 8
	s_addc_u32 s13, s13, 0
	s_cmp_lg_u32 s7, s14
	v_or_b32_e32 v17, v0, v17
	v_or_b32_e32 v18, v1, v18
	s_cbranch_scc1 .LBB0_185
.LBB0_186:                              ;   in Loop: Header=BB0_161 Depth=1
	s_mov_b64 s[12:13], s[0:1]
	s_mov_b32 s16, 0
	s_cbranch_execz .LBB0_188
	s_branch .LBB0_189
.LBB0_187:                              ;   in Loop: Header=BB0_161 Depth=1
                                        ; implicit-def: $vgpr17_vgpr18
	s_mov_b32 s16, 0
.LBB0_188:                              ;   in Loop: Header=BB0_161 Depth=1
	global_load_dwordx2 v[17:18], v10, s[0:1]
	s_add_i32 s16, s7, -8
.LBB0_189:                              ;   in Loop: Header=BB0_161 Depth=1
	s_add_u32 s0, s12, 8
	s_addc_u32 s1, s13, 0
	s_cmp_gt_u32 s16, 7
	s_cbranch_scc1 .LBB0_194
; %bb.190:                              ;   in Loop: Header=BB0_161 Depth=1
	v_mov_b32_e32 v19, 0
	v_mov_b32_e32 v20, 0
	s_cmp_eq_u32 s16, 0
	s_cbranch_scc1 .LBB0_193
; %bb.191:                              ;   in Loop: Header=BB0_161 Depth=1
	s_mov_b64 s[0:1], 0
	s_mov_b64 s[14:15], 0
.LBB0_192:                              ;   Parent Loop BB0_161 Depth=1
                                        ; =>  This Inner Loop Header: Depth=2
	s_add_u32 s18, s12, s14
	s_addc_u32 s19, s13, s15
	s_add_u32 s14, s14, 1
	global_load_ubyte v0, v10, s[18:19]
	s_addc_u32 s15, s15, 0
	s_waitcnt vmcnt(0)
	v_and_b32_e32 v9, 0xffff, v0
	v_lshlrev_b64 v[0:1], s0, v[9:10]
	s_add_u32 s0, s0, 8
	s_addc_u32 s1, s1, 0
	s_cmp_lg_u32 s16, s14
	v_or_b32_e32 v19, v0, v19
	v_or_b32_e32 v20, v1, v20
	s_cbranch_scc1 .LBB0_192
.LBB0_193:                              ;   in Loop: Header=BB0_161 Depth=1
	s_mov_b64 s[0:1], s[12:13]
	s_mov_b32 s7, 0
	s_cbranch_execz .LBB0_195
	s_branch .LBB0_196
.LBB0_194:                              ;   in Loop: Header=BB0_161 Depth=1
	s_mov_b32 s7, 0
.LBB0_195:                              ;   in Loop: Header=BB0_161 Depth=1
	global_load_dwordx2 v[19:20], v10, s[12:13]
	s_add_i32 s7, s16, -8
.LBB0_196:                              ;   in Loop: Header=BB0_161 Depth=1
	s_add_u32 s12, s0, 8
	s_addc_u32 s13, s1, 0
	s_cmp_gt_u32 s7, 7
	s_cbranch_scc1 .LBB0_201
; %bb.197:                              ;   in Loop: Header=BB0_161 Depth=1
	v_mov_b32_e32 v21, 0
	v_mov_b32_e32 v22, 0
	s_cmp_eq_u32 s7, 0
	s_cbranch_scc1 .LBB0_200
; %bb.198:                              ;   in Loop: Header=BB0_161 Depth=1
	s_mov_b64 s[12:13], 0
	s_mov_b64 s[14:15], 0
.LBB0_199:                              ;   Parent Loop BB0_161 Depth=1
                                        ; =>  This Inner Loop Header: Depth=2
	s_add_u32 s16, s0, s14
	s_addc_u32 s17, s1, s15
	s_add_u32 s14, s14, 1
	global_load_ubyte v0, v10, s[16:17]
	s_addc_u32 s15, s15, 0
	s_waitcnt vmcnt(0)
	v_and_b32_e32 v9, 0xffff, v0
	v_lshlrev_b64 v[0:1], s12, v[9:10]
	s_add_u32 s12, s12, 8
	s_addc_u32 s13, s13, 0
	s_cmp_lg_u32 s7, s14
	v_or_b32_e32 v21, v0, v21
	v_or_b32_e32 v22, v1, v22
	s_cbranch_scc1 .LBB0_199
.LBB0_200:                              ;   in Loop: Header=BB0_161 Depth=1
	s_mov_b64 s[12:13], s[0:1]
	s_mov_b32 s16, 0
	s_cbranch_execz .LBB0_202
	s_branch .LBB0_203
.LBB0_201:                              ;   in Loop: Header=BB0_161 Depth=1
                                        ; implicit-def: $vgpr21_vgpr22
	s_mov_b32 s16, 0
.LBB0_202:                              ;   in Loop: Header=BB0_161 Depth=1
	global_load_dwordx2 v[21:22], v10, s[0:1]
	s_add_i32 s16, s7, -8
.LBB0_203:                              ;   in Loop: Header=BB0_161 Depth=1
	s_cmp_gt_u32 s16, 7
	s_cbranch_scc1 .LBB0_208
; %bb.204:                              ;   in Loop: Header=BB0_161 Depth=1
	v_mov_b32_e32 v23, 0
	v_mov_b32_e32 v24, 0
	s_cmp_eq_u32 s16, 0
	s_cbranch_scc1 .LBB0_207
; %bb.205:                              ;   in Loop: Header=BB0_161 Depth=1
	s_mov_b64 s[0:1], 0
	s_mov_b64 s[14:15], s[12:13]
.LBB0_206:                              ;   Parent Loop BB0_161 Depth=1
                                        ; =>  This Inner Loop Header: Depth=2
	global_load_ubyte v0, v10, s[14:15]
	s_add_i32 s16, s16, -1
	s_waitcnt vmcnt(0)
	v_and_b32_e32 v9, 0xffff, v0
	v_lshlrev_b64 v[0:1], s0, v[9:10]
	s_add_u32 s0, s0, 8
	s_addc_u32 s1, s1, 0
	s_add_u32 s14, s14, 1
	s_addc_u32 s15, s15, 0
	s_cmp_lg_u32 s16, 0
	v_or_b32_e32 v23, v0, v23
	v_or_b32_e32 v24, v1, v24
	s_cbranch_scc1 .LBB0_206
.LBB0_207:                              ;   in Loop: Header=BB0_161 Depth=1
	s_cbranch_execz .LBB0_209
	s_branch .LBB0_210
.LBB0_208:                              ;   in Loop: Header=BB0_161 Depth=1
.LBB0_209:                              ;   in Loop: Header=BB0_161 Depth=1
	global_load_dwordx2 v[23:24], v10, s[12:13]
.LBB0_210:                              ;   in Loop: Header=BB0_161 Depth=1
	v_readfirstlane_b32 s0, v30
	v_mov_b32_e32 v0, 0
	v_mov_b32_e32 v1, 0
	v_cmp_eq_u32_e64 s0, s0, v30
	s_and_saveexec_b32 s1, s0
	s_cbranch_execz .LBB0_216
; %bb.211:                              ;   in Loop: Header=BB0_161 Depth=1
	global_load_dwordx2 v[27:28], v10, s[2:3] offset:24 glc dlc
	s_waitcnt vmcnt(0)
	buffer_gl1_inv
	buffer_gl0_inv
	s_clause 0x1
	global_load_dwordx2 v[0:1], v10, s[2:3] offset:40
	global_load_dwordx2 v[25:26], v10, s[2:3]
	s_mov_b32 s7, exec_lo
	s_waitcnt vmcnt(1)
	v_and_b32_e32 v1, v1, v28
	v_and_b32_e32 v0, v0, v27
	v_mul_lo_u32 v1, v1, 24
	v_mul_hi_u32 v9, v0, 24
	v_mul_lo_u32 v0, v0, 24
	v_add_nc_u32_e32 v1, v9, v1
	s_waitcnt vmcnt(0)
	v_add_co_u32 v0, vcc_lo, v25, v0
	v_add_co_ci_u32_e64 v1, null, v26, v1, vcc_lo
	global_load_dwordx2 v[25:26], v[0:1], off glc dlc
	s_waitcnt vmcnt(0)
	global_atomic_cmpswap_x2 v[0:1], v10, v[25:28], s[2:3] offset:24 glc
	s_waitcnt vmcnt(0)
	buffer_gl1_inv
	buffer_gl0_inv
	v_cmpx_ne_u64_e64 v[0:1], v[27:28]
	s_cbranch_execz .LBB0_215
; %bb.212:                              ;   in Loop: Header=BB0_161 Depth=1
	s_mov_b32 s12, 0
	.p2align	6
.LBB0_213:                              ;   Parent Loop BB0_161 Depth=1
                                        ; =>  This Inner Loop Header: Depth=2
	s_sleep 1
	s_clause 0x1
	global_load_dwordx2 v[25:26], v10, s[2:3] offset:40
	global_load_dwordx2 v[32:33], v10, s[2:3]
	v_mov_b32_e32 v28, v1
	v_mov_b32_e32 v27, v0
	s_waitcnt vmcnt(1)
	v_and_b32_e32 v0, v25, v27
	v_and_b32_e32 v9, v26, v28
	s_waitcnt vmcnt(0)
	v_mad_u64_u32 v[0:1], null, v0, 24, v[32:33]
	v_mad_u64_u32 v[25:26], null, v9, 24, v[1:2]
	v_mov_b32_e32 v1, v25
	global_load_dwordx2 v[25:26], v[0:1], off glc dlc
	s_waitcnt vmcnt(0)
	global_atomic_cmpswap_x2 v[0:1], v10, v[25:28], s[2:3] offset:24 glc
	s_waitcnt vmcnt(0)
	buffer_gl1_inv
	buffer_gl0_inv
	v_cmp_eq_u64_e32 vcc_lo, v[0:1], v[27:28]
	s_or_b32 s12, vcc_lo, s12
	s_andn2_b32 exec_lo, exec_lo, s12
	s_cbranch_execnz .LBB0_213
; %bb.214:                              ;   in Loop: Header=BB0_161 Depth=1
	s_or_b32 exec_lo, exec_lo, s12
.LBB0_215:                              ;   in Loop: Header=BB0_161 Depth=1
	s_or_b32 exec_lo, exec_lo, s7
.LBB0_216:                              ;   in Loop: Header=BB0_161 Depth=1
	s_or_b32 exec_lo, exec_lo, s1
	s_clause 0x1
	global_load_dwordx2 v[32:33], v10, s[2:3] offset:40
	global_load_dwordx4 v[25:28], v10, s[2:3]
	v_readfirstlane_b32 s13, v1
	v_readfirstlane_b32 s12, v0
	s_mov_b32 s1, exec_lo
	s_waitcnt vmcnt(1)
	v_readfirstlane_b32 s14, v32
	v_readfirstlane_b32 s15, v33
	s_and_b64 s[14:15], s[14:15], s[12:13]
	s_mul_i32 s7, s15, 24
	s_mul_hi_u32 s16, s14, 24
	s_mul_i32 s17, s14, 24
	s_add_i32 s16, s16, s7
	s_waitcnt vmcnt(0)
	v_add_co_u32 v0, vcc_lo, v25, s17
	v_add_co_ci_u32_e64 v1, null, s16, v26, vcc_lo
	s_and_saveexec_b32 s7, s0
	s_cbranch_execz .LBB0_218
; %bb.217:                              ;   in Loop: Header=BB0_161 Depth=1
	v_mov_b32_e32 v9, s1
	global_store_dwordx4 v[0:1], v[9:12], off offset:8
.LBB0_218:                              ;   in Loop: Header=BB0_161 Depth=1
	s_or_b32 exec_lo, exec_lo, s7
	v_cmp_lt_u64_e64 vcc_lo, s[8:9], 57
	s_lshl_b64 s[14:15], s[14:15], 12
	v_and_b32_e32 v5, 0xffffff1f, v5
	s_lshl_b32 s1, s10, 2
	s_add_i32 s1, s1, 28
	v_cndmask_b32_e32 v9, 0, v31, vcc_lo
	v_add_co_u32 v27, vcc_lo, v27, s14
	v_add_co_ci_u32_e64 v28, null, s15, v28, vcc_lo
	v_or_b32_e32 v5, v5, v9
	v_readfirstlane_b32 s14, v27
	v_readfirstlane_b32 s15, v28
	v_and_or_b32 v5, 0x1e0, s1, v5
	global_store_dwordx4 v29, v[13:16], s[14:15] offset:16
	global_store_dwordx4 v29, v[5:8], s[14:15]
	global_store_dwordx4 v29, v[17:20], s[14:15] offset:32
	global_store_dwordx4 v29, v[21:24], s[14:15] offset:48
	s_and_saveexec_b32 s1, s0
	s_cbranch_execz .LBB0_226
; %bb.219:                              ;   in Loop: Header=BB0_161 Depth=1
	s_clause 0x1
	global_load_dwordx2 v[17:18], v10, s[2:3] offset:32 glc dlc
	global_load_dwordx2 v[5:6], v10, s[2:3] offset:40
	v_mov_b32_e32 v15, s12
	v_mov_b32_e32 v16, s13
	s_waitcnt vmcnt(0)
	v_readfirstlane_b32 s14, v5
	v_readfirstlane_b32 s15, v6
	s_and_b64 s[14:15], s[14:15], s[12:13]
	s_mul_i32 s7, s15, 24
	s_mul_hi_u32 s15, s14, 24
	s_mul_i32 s14, s14, 24
	s_add_i32 s15, s15, s7
	v_add_co_u32 v13, vcc_lo, v25, s14
	v_add_co_ci_u32_e64 v14, null, s15, v26, vcc_lo
	s_mov_b32 s7, exec_lo
	global_store_dwordx2 v[13:14], v[17:18], off
	s_waitcnt_vscnt null, 0x0
	global_atomic_cmpswap_x2 v[7:8], v10, v[15:18], s[2:3] offset:32 glc
	s_waitcnt vmcnt(0)
	v_cmpx_ne_u64_e64 v[7:8], v[17:18]
	s_cbranch_execz .LBB0_222
; %bb.220:                              ;   in Loop: Header=BB0_161 Depth=1
	s_mov_b32 s14, 0
.LBB0_221:                              ;   Parent Loop BB0_161 Depth=1
                                        ; =>  This Inner Loop Header: Depth=2
	v_mov_b32_e32 v5, s12
	v_mov_b32_e32 v6, s13
	s_sleep 1
	global_store_dwordx2 v[13:14], v[7:8], off
	s_waitcnt_vscnt null, 0x0
	global_atomic_cmpswap_x2 v[5:6], v10, v[5:8], s[2:3] offset:32 glc
	s_waitcnt vmcnt(0)
	v_cmp_eq_u64_e32 vcc_lo, v[5:6], v[7:8]
	v_mov_b32_e32 v8, v6
	v_mov_b32_e32 v7, v5
	s_or_b32 s14, vcc_lo, s14
	s_andn2_b32 exec_lo, exec_lo, s14
	s_cbranch_execnz .LBB0_221
.LBB0_222:                              ;   in Loop: Header=BB0_161 Depth=1
	s_or_b32 exec_lo, exec_lo, s7
	global_load_dwordx2 v[5:6], v10, s[2:3] offset:16
	s_mov_b32 s14, exec_lo
	s_mov_b32 s7, exec_lo
	v_mbcnt_lo_u32_b32 v7, s14, 0
	v_cmpx_eq_u32_e32 0, v7
	s_cbranch_execz .LBB0_224
; %bb.223:                              ;   in Loop: Header=BB0_161 Depth=1
	s_bcnt1_i32_b32 s14, s14
	v_mov_b32_e32 v9, s14
	s_waitcnt vmcnt(0)
	global_atomic_add_x2 v[5:6], v[9:10], off offset:8
.LBB0_224:                              ;   in Loop: Header=BB0_161 Depth=1
	s_or_b32 exec_lo, exec_lo, s7
	s_waitcnt vmcnt(0)
	global_load_dwordx2 v[7:8], v[5:6], off offset:16
	s_waitcnt vmcnt(0)
	v_cmp_eq_u64_e32 vcc_lo, 0, v[7:8]
	s_cbranch_vccnz .LBB0_226
; %bb.225:                              ;   in Loop: Header=BB0_161 Depth=1
	global_load_dword v9, v[5:6], off offset:24
	s_waitcnt vmcnt(0)
	v_readfirstlane_b32 s7, v9
	s_waitcnt_vscnt null, 0x0
	global_store_dwordx2 v[7:8], v[9:10], off
	s_and_b32 m0, s7, 0x7fffff
	s_sendmsg sendmsg(MSG_INTERRUPT)
.LBB0_226:                              ;   in Loop: Header=BB0_161 Depth=1
	s_or_b32 exec_lo, exec_lo, s1
	v_add_co_u32 v5, vcc_lo, v27, v29
	v_add_co_ci_u32_e64 v6, null, 0, v28, vcc_lo
	s_branch .LBB0_230
	.p2align	6
.LBB0_227:                              ;   in Loop: Header=BB0_230 Depth=2
	s_or_b32 exec_lo, exec_lo, s1
	v_readfirstlane_b32 s1, v7
	s_cmp_eq_u32 s1, 0
	s_cbranch_scc1 .LBB0_229
; %bb.228:                              ;   in Loop: Header=BB0_230 Depth=2
	s_sleep 1
	s_cbranch_execnz .LBB0_230
	s_branch .LBB0_232
	.p2align	6
.LBB0_229:                              ;   in Loop: Header=BB0_161 Depth=1
	s_branch .LBB0_232
.LBB0_230:                              ;   Parent Loop BB0_161 Depth=1
                                        ; =>  This Inner Loop Header: Depth=2
	v_mov_b32_e32 v7, 1
	s_and_saveexec_b32 s1, s0
	s_cbranch_execz .LBB0_227
; %bb.231:                              ;   in Loop: Header=BB0_230 Depth=2
	global_load_dword v7, v[0:1], off offset:20 glc dlc
	s_waitcnt vmcnt(0)
	buffer_gl1_inv
	buffer_gl0_inv
	v_and_b32_e32 v7, 1, v7
	s_branch .LBB0_227
.LBB0_232:                              ;   in Loop: Header=BB0_161 Depth=1
	global_load_dwordx2 v[5:6], v[5:6], off
	s_and_saveexec_b32 s7, s0
	s_cbranch_execz .LBB0_160
; %bb.233:                              ;   in Loop: Header=BB0_161 Depth=1
	s_clause 0x2
	global_load_dwordx2 v[0:1], v10, s[2:3] offset:40
	global_load_dwordx2 v[17:18], v10, s[2:3] offset:24 glc dlc
	global_load_dwordx2 v[7:8], v10, s[2:3]
	s_waitcnt vmcnt(2)
	v_readfirstlane_b32 s14, v0
	v_readfirstlane_b32 s15, v1
	s_add_u32 s16, s14, 1
	s_addc_u32 s17, s15, 0
	s_add_u32 s0, s16, s12
	s_addc_u32 s1, s17, s13
	s_cmp_eq_u64 s[0:1], 0
	s_cselect_b32 s1, s17, s1
	s_cselect_b32 s0, s16, s0
	v_mov_b32_e32 v16, s1
	s_and_b64 s[12:13], s[0:1], s[14:15]
	v_mov_b32_e32 v15, s0
	s_mul_i32 s13, s13, 24
	s_mul_hi_u32 s14, s12, 24
	s_mul_i32 s12, s12, 24
	s_add_i32 s14, s14, s13
	s_waitcnt vmcnt(0)
	v_add_co_u32 v0, vcc_lo, v7, s12
	v_add_co_ci_u32_e64 v1, null, s14, v8, vcc_lo
	global_store_dwordx2 v[0:1], v[17:18], off
	s_waitcnt_vscnt null, 0x0
	global_atomic_cmpswap_x2 v[15:16], v10, v[15:18], s[2:3] offset:24 glc
	s_waitcnt vmcnt(0)
	v_cmp_ne_u64_e32 vcc_lo, v[15:16], v[17:18]
	s_and_b32 exec_lo, exec_lo, vcc_lo
	s_cbranch_execz .LBB0_160
; %bb.234:                              ;   in Loop: Header=BB0_161 Depth=1
	s_mov_b32 s12, 0
.LBB0_235:                              ;   Parent Loop BB0_161 Depth=1
                                        ; =>  This Inner Loop Header: Depth=2
	v_mov_b32_e32 v13, s0
	v_mov_b32_e32 v14, s1
	s_sleep 1
	global_store_dwordx2 v[0:1], v[15:16], off
	s_waitcnt_vscnt null, 0x0
	global_atomic_cmpswap_x2 v[7:8], v10, v[13:16], s[2:3] offset:24 glc
	s_waitcnt vmcnt(0)
	v_cmp_eq_u64_e32 vcc_lo, v[7:8], v[15:16]
	v_mov_b32_e32 v16, v8
	v_mov_b32_e32 v15, v7
	s_or_b32 s12, vcc_lo, s12
	s_andn2_b32 exec_lo, exec_lo, s12
	s_cbranch_execnz .LBB0_235
	s_branch .LBB0_160
.LBB0_236:
	s_branch .LBB0_265
.LBB0_237:
                                        ; implicit-def: $vgpr5_vgpr6
	s_cbranch_execz .LBB0_265
; %bb.238:
	v_readfirstlane_b32 s0, v30
	v_mov_b32_e32 v0, 0
	v_mov_b32_e32 v1, 0
	v_cmp_eq_u32_e64 s0, s0, v30
	s_and_saveexec_b32 s1, s0
	s_cbranch_execz .LBB0_244
; %bb.239:
	s_waitcnt vmcnt(0)
	v_mov_b32_e32 v5, 0
	s_mov_b32 s4, exec_lo
	global_load_dwordx2 v[8:9], v5, s[2:3] offset:24 glc dlc
	s_waitcnt vmcnt(0)
	buffer_gl1_inv
	buffer_gl0_inv
	s_clause 0x1
	global_load_dwordx2 v[0:1], v5, s[2:3] offset:40
	global_load_dwordx2 v[6:7], v5, s[2:3]
	s_waitcnt vmcnt(1)
	v_and_b32_e32 v1, v1, v9
	v_and_b32_e32 v0, v0, v8
	v_mul_lo_u32 v1, v1, 24
	v_mul_hi_u32 v10, v0, 24
	v_mul_lo_u32 v0, v0, 24
	v_add_nc_u32_e32 v1, v10, v1
	s_waitcnt vmcnt(0)
	v_add_co_u32 v0, vcc_lo, v6, v0
	v_add_co_ci_u32_e64 v1, null, v7, v1, vcc_lo
	global_load_dwordx2 v[6:7], v[0:1], off glc dlc
	s_waitcnt vmcnt(0)
	global_atomic_cmpswap_x2 v[0:1], v5, v[6:9], s[2:3] offset:24 glc
	s_waitcnt vmcnt(0)
	buffer_gl1_inv
	buffer_gl0_inv
	v_cmpx_ne_u64_e64 v[0:1], v[8:9]
	s_cbranch_execz .LBB0_243
; %bb.240:
	s_mov_b32 s5, 0
	.p2align	6
.LBB0_241:                              ; =>This Inner Loop Header: Depth=1
	s_sleep 1
	s_clause 0x1
	global_load_dwordx2 v[6:7], v5, s[2:3] offset:40
	global_load_dwordx2 v[10:11], v5, s[2:3]
	v_mov_b32_e32 v9, v1
	v_mov_b32_e32 v8, v0
	s_waitcnt vmcnt(1)
	v_and_b32_e32 v0, v6, v8
	v_and_b32_e32 v6, v7, v9
	s_waitcnt vmcnt(0)
	v_mad_u64_u32 v[0:1], null, v0, 24, v[10:11]
	v_mad_u64_u32 v[6:7], null, v6, 24, v[1:2]
	v_mov_b32_e32 v1, v6
	global_load_dwordx2 v[6:7], v[0:1], off glc dlc
	s_waitcnt vmcnt(0)
	global_atomic_cmpswap_x2 v[0:1], v5, v[6:9], s[2:3] offset:24 glc
	s_waitcnt vmcnt(0)
	buffer_gl1_inv
	buffer_gl0_inv
	v_cmp_eq_u64_e32 vcc_lo, v[0:1], v[8:9]
	s_or_b32 s5, vcc_lo, s5
	s_andn2_b32 exec_lo, exec_lo, s5
	s_cbranch_execnz .LBB0_241
; %bb.242:
	s_or_b32 exec_lo, exec_lo, s5
.LBB0_243:
	s_or_b32 exec_lo, exec_lo, s4
.LBB0_244:
	s_or_b32 exec_lo, exec_lo, s1
	s_waitcnt vmcnt(0)
	v_mov_b32_e32 v5, 0
	v_readfirstlane_b32 s5, v1
	v_readfirstlane_b32 s4, v0
	s_mov_b32 s1, exec_lo
	s_clause 0x1
	global_load_dwordx2 v[11:12], v5, s[2:3] offset:40
	global_load_dwordx4 v[7:10], v5, s[2:3]
	s_waitcnt vmcnt(1)
	v_readfirstlane_b32 s8, v11
	v_readfirstlane_b32 s9, v12
	s_and_b64 s[8:9], s[8:9], s[4:5]
	s_mul_i32 s7, s9, 24
	s_mul_hi_u32 s10, s8, 24
	s_mul_i32 s11, s8, 24
	s_add_i32 s10, s10, s7
	s_waitcnt vmcnt(0)
	v_add_co_u32 v0, vcc_lo, v7, s11
	v_add_co_ci_u32_e64 v1, null, s10, v8, vcc_lo
	s_and_saveexec_b32 s7, s0
	s_cbranch_execz .LBB0_246
; %bb.245:
	v_mov_b32_e32 v11, s1
	v_mov_b32_e32 v12, v5
	v_mov_b32_e32 v13, 2
	v_mov_b32_e32 v14, 1
	global_store_dwordx4 v[0:1], v[11:14], off offset:8
.LBB0_246:
	s_or_b32 exec_lo, exec_lo, s7
	s_lshl_b64 s[8:9], s[8:9], 12
	v_and_or_b32 v3, 0xffffff1f, v3, 32
	v_add_co_u32 v9, vcc_lo, v9, s8
	v_add_co_ci_u32_e64 v10, null, s9, v10, vcc_lo
	s_mov_b32 s8, 0
	v_readfirstlane_b32 s12, v9
	s_mov_b32 s11, s8
	v_add_co_u32 v9, vcc_lo, v9, v29
	s_mov_b32 s9, s8
	s_mov_b32 s10, s8
	v_mov_b32_e32 v6, v5
	v_readfirstlane_b32 s13, v10
	v_mov_b32_e32 v14, s11
	v_add_co_ci_u32_e64 v10, null, 0, v10, vcc_lo
	v_mov_b32_e32 v13, s10
	v_mov_b32_e32 v12, s9
	;; [unrolled: 1-line block ×3, first 2 shown]
	global_store_dwordx4 v29, v[3:6], s[12:13]
	global_store_dwordx4 v29, v[11:14], s[12:13] offset:16
	global_store_dwordx4 v29, v[11:14], s[12:13] offset:32
	;; [unrolled: 1-line block ×3, first 2 shown]
	s_and_saveexec_b32 s1, s0
	s_cbranch_execz .LBB0_254
; %bb.247:
	v_mov_b32_e32 v11, 0
	v_mov_b32_e32 v12, s4
	;; [unrolled: 1-line block ×3, first 2 shown]
	s_clause 0x1
	global_load_dwordx2 v[14:15], v11, s[2:3] offset:32 glc dlc
	global_load_dwordx2 v[3:4], v11, s[2:3] offset:40
	s_waitcnt vmcnt(0)
	v_readfirstlane_b32 s8, v3
	v_readfirstlane_b32 s9, v4
	s_and_b64 s[8:9], s[8:9], s[4:5]
	s_mul_i32 s7, s9, 24
	s_mul_hi_u32 s9, s8, 24
	s_mul_i32 s8, s8, 24
	s_add_i32 s9, s9, s7
	v_add_co_u32 v7, vcc_lo, v7, s8
	v_add_co_ci_u32_e64 v8, null, s9, v8, vcc_lo
	s_mov_b32 s7, exec_lo
	global_store_dwordx2 v[7:8], v[14:15], off
	s_waitcnt_vscnt null, 0x0
	global_atomic_cmpswap_x2 v[5:6], v11, v[12:15], s[2:3] offset:32 glc
	s_waitcnt vmcnt(0)
	v_cmpx_ne_u64_e64 v[5:6], v[14:15]
	s_cbranch_execz .LBB0_250
; %bb.248:
	s_mov_b32 s8, 0
.LBB0_249:                              ; =>This Inner Loop Header: Depth=1
	v_mov_b32_e32 v3, s4
	v_mov_b32_e32 v4, s5
	s_sleep 1
	global_store_dwordx2 v[7:8], v[5:6], off
	s_waitcnt_vscnt null, 0x0
	global_atomic_cmpswap_x2 v[3:4], v11, v[3:6], s[2:3] offset:32 glc
	s_waitcnt vmcnt(0)
	v_cmp_eq_u64_e32 vcc_lo, v[3:4], v[5:6]
	v_mov_b32_e32 v6, v4
	v_mov_b32_e32 v5, v3
	s_or_b32 s8, vcc_lo, s8
	s_andn2_b32 exec_lo, exec_lo, s8
	s_cbranch_execnz .LBB0_249
.LBB0_250:
	s_or_b32 exec_lo, exec_lo, s7
	v_mov_b32_e32 v6, 0
	s_mov_b32 s8, exec_lo
	s_mov_b32 s7, exec_lo
	v_mbcnt_lo_u32_b32 v5, s8, 0
	global_load_dwordx2 v[3:4], v6, s[2:3] offset:16
	v_cmpx_eq_u32_e32 0, v5
	s_cbranch_execz .LBB0_252
; %bb.251:
	s_bcnt1_i32_b32 s8, s8
	v_mov_b32_e32 v5, s8
	s_waitcnt vmcnt(0)
	global_atomic_add_x2 v[3:4], v[5:6], off offset:8
.LBB0_252:
	s_or_b32 exec_lo, exec_lo, s7
	s_waitcnt vmcnt(0)
	global_load_dwordx2 v[5:6], v[3:4], off offset:16
	s_waitcnt vmcnt(0)
	v_cmp_eq_u64_e32 vcc_lo, 0, v[5:6]
	s_cbranch_vccnz .LBB0_254
; %bb.253:
	global_load_dword v3, v[3:4], off offset:24
	v_mov_b32_e32 v4, 0
	s_waitcnt vmcnt(0)
	v_readfirstlane_b32 s7, v3
	s_waitcnt_vscnt null, 0x0
	global_store_dwordx2 v[5:6], v[3:4], off
	s_and_b32 m0, s7, 0x7fffff
	s_sendmsg sendmsg(MSG_INTERRUPT)
.LBB0_254:
	s_or_b32 exec_lo, exec_lo, s1
	s_branch .LBB0_258
	.p2align	6
.LBB0_255:                              ;   in Loop: Header=BB0_258 Depth=1
	s_or_b32 exec_lo, exec_lo, s1
	v_readfirstlane_b32 s1, v3
	s_cmp_eq_u32 s1, 0
	s_cbranch_scc1 .LBB0_257
; %bb.256:                              ;   in Loop: Header=BB0_258 Depth=1
	s_sleep 1
	s_cbranch_execnz .LBB0_258
	s_branch .LBB0_260
	.p2align	6
.LBB0_257:
	s_branch .LBB0_260
.LBB0_258:                              ; =>This Inner Loop Header: Depth=1
	v_mov_b32_e32 v3, 1
	s_and_saveexec_b32 s1, s0
	s_cbranch_execz .LBB0_255
; %bb.259:                              ;   in Loop: Header=BB0_258 Depth=1
	global_load_dword v3, v[0:1], off offset:20 glc dlc
	s_waitcnt vmcnt(0)
	buffer_gl1_inv
	buffer_gl0_inv
	v_and_b32_e32 v3, 1, v3
	s_branch .LBB0_255
.LBB0_260:
	global_load_dwordx2 v[5:6], v[9:10], off
	s_and_saveexec_b32 s7, s0
	s_cbranch_execz .LBB0_264
; %bb.261:
	v_mov_b32_e32 v3, 0
	s_clause 0x2
	global_load_dwordx2 v[0:1], v3, s[2:3] offset:40
	global_load_dwordx2 v[11:12], v3, s[2:3] offset:24 glc dlc
	global_load_dwordx2 v[7:8], v3, s[2:3]
	s_waitcnt vmcnt(2)
	v_readfirstlane_b32 s8, v0
	v_readfirstlane_b32 s9, v1
	s_add_u32 s10, s8, 1
	s_addc_u32 s11, s9, 0
	s_add_u32 s0, s10, s4
	s_addc_u32 s1, s11, s5
	s_cmp_eq_u64 s[0:1], 0
	s_cselect_b32 s1, s11, s1
	s_cselect_b32 s0, s10, s0
	v_mov_b32_e32 v10, s1
	s_and_b64 s[4:5], s[0:1], s[8:9]
	v_mov_b32_e32 v9, s0
	s_mul_i32 s5, s5, 24
	s_mul_hi_u32 s8, s4, 24
	s_mul_i32 s4, s4, 24
	s_add_i32 s8, s8, s5
	s_waitcnt vmcnt(0)
	v_add_co_u32 v0, vcc_lo, v7, s4
	v_add_co_ci_u32_e64 v1, null, s8, v8, vcc_lo
	global_store_dwordx2 v[0:1], v[11:12], off
	s_waitcnt_vscnt null, 0x0
	global_atomic_cmpswap_x2 v[9:10], v3, v[9:12], s[2:3] offset:24 glc
	s_waitcnt vmcnt(0)
	v_cmp_ne_u64_e32 vcc_lo, v[9:10], v[11:12]
	s_and_b32 exec_lo, exec_lo, vcc_lo
	s_cbranch_execz .LBB0_264
; %bb.262:
	s_mov_b32 s4, 0
.LBB0_263:                              ; =>This Inner Loop Header: Depth=1
	v_mov_b32_e32 v7, s0
	v_mov_b32_e32 v8, s1
	s_sleep 1
	global_store_dwordx2 v[0:1], v[9:10], off
	s_waitcnt_vscnt null, 0x0
	global_atomic_cmpswap_x2 v[7:8], v3, v[7:10], s[2:3] offset:24 glc
	s_waitcnt vmcnt(0)
	v_cmp_eq_u64_e32 vcc_lo, v[7:8], v[9:10]
	v_mov_b32_e32 v10, v8
	v_mov_b32_e32 v9, v7
	s_or_b32 s4, vcc_lo, s4
	s_andn2_b32 exec_lo, exec_lo, s4
	s_cbranch_execnz .LBB0_263
.LBB0_264:
	s_or_b32 exec_lo, exec_lo, s7
.LBB0_265:
	v_readfirstlane_b32 s0, v30
	v_mov_b32_e32 v0, 0
	v_mov_b32_e32 v1, 0
	v_cmp_eq_u32_e64 s0, s0, v30
	s_and_saveexec_b32 s1, s0
	s_cbranch_execz .LBB0_271
; %bb.266:
	s_waitcnt vmcnt(0)
	v_mov_b32_e32 v3, 0
	s_mov_b32 s4, exec_lo
	global_load_dwordx2 v[9:10], v3, s[2:3] offset:24 glc dlc
	s_waitcnt vmcnt(0)
	buffer_gl1_inv
	buffer_gl0_inv
	s_clause 0x1
	global_load_dwordx2 v[0:1], v3, s[2:3] offset:40
	global_load_dwordx2 v[7:8], v3, s[2:3]
	s_waitcnt vmcnt(1)
	v_and_b32_e32 v1, v1, v10
	v_and_b32_e32 v0, v0, v9
	v_mul_lo_u32 v1, v1, 24
	v_mul_hi_u32 v4, v0, 24
	v_mul_lo_u32 v0, v0, 24
	v_add_nc_u32_e32 v1, v4, v1
	s_waitcnt vmcnt(0)
	v_add_co_u32 v0, vcc_lo, v7, v0
	v_add_co_ci_u32_e64 v1, null, v8, v1, vcc_lo
	global_load_dwordx2 v[7:8], v[0:1], off glc dlc
	s_waitcnt vmcnt(0)
	global_atomic_cmpswap_x2 v[0:1], v3, v[7:10], s[2:3] offset:24 glc
	s_waitcnt vmcnt(0)
	buffer_gl1_inv
	buffer_gl0_inv
	v_cmpx_ne_u64_e64 v[0:1], v[9:10]
	s_cbranch_execz .LBB0_270
; %bb.267:
	s_mov_b32 s5, 0
	.p2align	6
.LBB0_268:                              ; =>This Inner Loop Header: Depth=1
	s_sleep 1
	s_clause 0x1
	global_load_dwordx2 v[7:8], v3, s[2:3] offset:40
	global_load_dwordx2 v[11:12], v3, s[2:3]
	v_mov_b32_e32 v10, v1
	v_mov_b32_e32 v9, v0
	s_waitcnt vmcnt(1)
	v_and_b32_e32 v0, v7, v9
	v_and_b32_e32 v4, v8, v10
	s_waitcnt vmcnt(0)
	v_mad_u64_u32 v[0:1], null, v0, 24, v[11:12]
	v_mad_u64_u32 v[7:8], null, v4, 24, v[1:2]
	v_mov_b32_e32 v1, v7
	global_load_dwordx2 v[7:8], v[0:1], off glc dlc
	s_waitcnt vmcnt(0)
	global_atomic_cmpswap_x2 v[0:1], v3, v[7:10], s[2:3] offset:24 glc
	s_waitcnt vmcnt(0)
	buffer_gl1_inv
	buffer_gl0_inv
	v_cmp_eq_u64_e32 vcc_lo, v[0:1], v[9:10]
	s_or_b32 s5, vcc_lo, s5
	s_andn2_b32 exec_lo, exec_lo, s5
	s_cbranch_execnz .LBB0_268
; %bb.269:
	s_or_b32 exec_lo, exec_lo, s5
.LBB0_270:
	s_or_b32 exec_lo, exec_lo, s4
.LBB0_271:
	s_or_b32 exec_lo, exec_lo, s1
	v_mov_b32_e32 v8, 0
	v_readfirstlane_b32 s5, v1
	v_readfirstlane_b32 s4, v0
	s_mov_b32 s1, exec_lo
	s_clause 0x1
	global_load_dwordx2 v[3:4], v8, s[2:3] offset:40
	global_load_dwordx4 v[9:12], v8, s[2:3]
	s_waitcnt vmcnt(1)
	v_readfirstlane_b32 s8, v3
	v_readfirstlane_b32 s9, v4
	s_and_b64 s[8:9], s[8:9], s[4:5]
	s_mul_i32 s7, s9, 24
	s_mul_hi_u32 s10, s8, 24
	s_mul_i32 s11, s8, 24
	s_add_i32 s10, s10, s7
	s_waitcnt vmcnt(0)
	v_add_co_u32 v0, vcc_lo, v9, s11
	v_add_co_ci_u32_e64 v1, null, s10, v10, vcc_lo
	s_and_saveexec_b32 s7, s0
	s_cbranch_execz .LBB0_273
; %bb.272:
	v_mov_b32_e32 v7, s1
	v_mov_b32_e32 v14, v8
	;; [unrolled: 1-line block ×5, first 2 shown]
	global_store_dwordx4 v[0:1], v[13:16], off offset:8
.LBB0_273:
	s_or_b32 exec_lo, exec_lo, s7
	s_lshl_b64 s[8:9], s[8:9], 12
	v_and_or_b32 v5, 0xffffff1f, v5, 32
	v_add_co_u32 v3, vcc_lo, v11, s8
	v_add_co_ci_u32_e64 v4, null, s9, v12, vcc_lo
	s_mov_b32 s8, 0
	v_add_co_u32 v11, vcc_lo, v3, v29
	s_mov_b32 s11, s8
	s_mov_b32 s9, s8
	;; [unrolled: 1-line block ×3, first 2 shown]
	v_mov_b32_e32 v7, s6
	v_readfirstlane_b32 s6, v3
	v_readfirstlane_b32 s7, v4
	v_mov_b32_e32 v16, s11
	v_add_co_ci_u32_e64 v12, null, 0, v4, vcc_lo
	v_mov_b32_e32 v15, s10
	v_mov_b32_e32 v14, s9
	;; [unrolled: 1-line block ×3, first 2 shown]
	global_store_dwordx4 v29, v[5:8], s[6:7]
	global_store_dwordx4 v29, v[13:16], s[6:7] offset:16
	global_store_dwordx4 v29, v[13:16], s[6:7] offset:32
	;; [unrolled: 1-line block ×3, first 2 shown]
	s_and_saveexec_b32 s1, s0
	s_cbranch_execz .LBB0_281
; %bb.274:
	v_mov_b32_e32 v13, 0
	v_mov_b32_e32 v14, s4
	;; [unrolled: 1-line block ×3, first 2 shown]
	s_clause 0x1
	global_load_dwordx2 v[16:17], v13, s[2:3] offset:32 glc dlc
	global_load_dwordx2 v[3:4], v13, s[2:3] offset:40
	s_waitcnt vmcnt(0)
	v_readfirstlane_b32 s6, v3
	v_readfirstlane_b32 s7, v4
	s_and_b64 s[6:7], s[6:7], s[4:5]
	s_mul_i32 s7, s7, 24
	s_mul_hi_u32 s8, s6, 24
	s_mul_i32 s6, s6, 24
	s_add_i32 s8, s8, s7
	v_add_co_u32 v7, vcc_lo, v9, s6
	v_add_co_ci_u32_e64 v8, null, s8, v10, vcc_lo
	s_mov_b32 s6, exec_lo
	global_store_dwordx2 v[7:8], v[16:17], off
	s_waitcnt_vscnt null, 0x0
	global_atomic_cmpswap_x2 v[5:6], v13, v[14:17], s[2:3] offset:32 glc
	s_waitcnt vmcnt(0)
	v_cmpx_ne_u64_e64 v[5:6], v[16:17]
	s_cbranch_execz .LBB0_277
; %bb.275:
	s_mov_b32 s7, 0
.LBB0_276:                              ; =>This Inner Loop Header: Depth=1
	v_mov_b32_e32 v3, s4
	v_mov_b32_e32 v4, s5
	s_sleep 1
	global_store_dwordx2 v[7:8], v[5:6], off
	s_waitcnt_vscnt null, 0x0
	global_atomic_cmpswap_x2 v[3:4], v13, v[3:6], s[2:3] offset:32 glc
	s_waitcnt vmcnt(0)
	v_cmp_eq_u64_e32 vcc_lo, v[3:4], v[5:6]
	v_mov_b32_e32 v6, v4
	v_mov_b32_e32 v5, v3
	s_or_b32 s7, vcc_lo, s7
	s_andn2_b32 exec_lo, exec_lo, s7
	s_cbranch_execnz .LBB0_276
.LBB0_277:
	s_or_b32 exec_lo, exec_lo, s6
	v_mov_b32_e32 v6, 0
	s_mov_b32 s7, exec_lo
	s_mov_b32 s6, exec_lo
	v_mbcnt_lo_u32_b32 v5, s7, 0
	global_load_dwordx2 v[3:4], v6, s[2:3] offset:16
	v_cmpx_eq_u32_e32 0, v5
	s_cbranch_execz .LBB0_279
; %bb.278:
	s_bcnt1_i32_b32 s7, s7
	v_mov_b32_e32 v5, s7
	s_waitcnt vmcnt(0)
	global_atomic_add_x2 v[3:4], v[5:6], off offset:8
.LBB0_279:
	s_or_b32 exec_lo, exec_lo, s6
	s_waitcnt vmcnt(0)
	global_load_dwordx2 v[5:6], v[3:4], off offset:16
	s_waitcnt vmcnt(0)
	v_cmp_eq_u64_e32 vcc_lo, 0, v[5:6]
	s_cbranch_vccnz .LBB0_281
; %bb.280:
	global_load_dword v3, v[3:4], off offset:24
	v_mov_b32_e32 v4, 0
	s_waitcnt vmcnt(0)
	v_readfirstlane_b32 s6, v3
	s_waitcnt_vscnt null, 0x0
	global_store_dwordx2 v[5:6], v[3:4], off
	s_and_b32 m0, s6, 0x7fffff
	s_sendmsg sendmsg(MSG_INTERRUPT)
.LBB0_281:
	s_or_b32 exec_lo, exec_lo, s1
	s_branch .LBB0_285
	.p2align	6
.LBB0_282:                              ;   in Loop: Header=BB0_285 Depth=1
	s_or_b32 exec_lo, exec_lo, s1
	v_readfirstlane_b32 s1, v3
	s_cmp_eq_u32 s1, 0
	s_cbranch_scc1 .LBB0_284
; %bb.283:                              ;   in Loop: Header=BB0_285 Depth=1
	s_sleep 1
	s_cbranch_execnz .LBB0_285
	s_branch .LBB0_287
	.p2align	6
.LBB0_284:
	s_branch .LBB0_287
.LBB0_285:                              ; =>This Inner Loop Header: Depth=1
	v_mov_b32_e32 v3, 1
	s_and_saveexec_b32 s1, s0
	s_cbranch_execz .LBB0_282
; %bb.286:                              ;   in Loop: Header=BB0_285 Depth=1
	global_load_dword v3, v[0:1], off offset:20 glc dlc
	s_waitcnt vmcnt(0)
	buffer_gl1_inv
	buffer_gl0_inv
	v_and_b32_e32 v3, 1, v3
	s_branch .LBB0_282
.LBB0_287:
	global_load_dwordx2 v[0:1], v[11:12], off
	s_and_saveexec_b32 s6, s0
	s_cbranch_execz .LBB0_291
; %bb.288:
	v_mov_b32_e32 v9, 0
	s_clause 0x2
	global_load_dwordx2 v[3:4], v9, s[2:3] offset:40
	global_load_dwordx2 v[12:13], v9, s[2:3] offset:24 glc dlc
	global_load_dwordx2 v[5:6], v9, s[2:3]
	s_waitcnt vmcnt(2)
	v_readfirstlane_b32 s8, v3
	v_readfirstlane_b32 s9, v4
	s_add_u32 s7, s8, 1
	s_addc_u32 s10, s9, 0
	s_add_u32 s0, s7, s4
	s_addc_u32 s1, s10, s5
	s_cmp_eq_u64 s[0:1], 0
	s_cselect_b32 s1, s10, s1
	s_cselect_b32 s0, s7, s0
	v_mov_b32_e32 v11, s1
	s_and_b64 s[4:5], s[0:1], s[8:9]
	v_mov_b32_e32 v10, s0
	s_mul_i32 s5, s5, 24
	s_mul_hi_u32 s7, s4, 24
	s_mul_i32 s4, s4, 24
	s_add_i32 s7, s7, s5
	s_waitcnt vmcnt(0)
	v_add_co_u32 v7, vcc_lo, v5, s4
	v_add_co_ci_u32_e64 v8, null, s7, v6, vcc_lo
	global_store_dwordx2 v[7:8], v[12:13], off
	s_waitcnt_vscnt null, 0x0
	global_atomic_cmpswap_x2 v[5:6], v9, v[10:13], s[2:3] offset:24 glc
	s_waitcnt vmcnt(0)
	v_cmp_ne_u64_e32 vcc_lo, v[5:6], v[12:13]
	s_and_b32 exec_lo, exec_lo, vcc_lo
	s_cbranch_execz .LBB0_291
; %bb.289:
	s_mov_b32 s4, 0
.LBB0_290:                              ; =>This Inner Loop Header: Depth=1
	v_mov_b32_e32 v3, s0
	v_mov_b32_e32 v4, s1
	s_sleep 1
	global_store_dwordx2 v[7:8], v[5:6], off
	s_waitcnt_vscnt null, 0x0
	global_atomic_cmpswap_x2 v[3:4], v9, v[3:6], s[2:3] offset:24 glc
	s_waitcnt vmcnt(0)
	v_cmp_eq_u64_e32 vcc_lo, v[3:4], v[5:6]
	v_mov_b32_e32 v6, v4
	v_mov_b32_e32 v5, v3
	s_or_b32 s4, vcc_lo, s4
	s_andn2_b32 exec_lo, exec_lo, s4
	s_cbranch_execnz .LBB0_290
.LBB0_291:
	s_or_b32 exec_lo, exec_lo, s6
	v_readfirstlane_b32 s0, v30
	v_mov_b32_e32 v8, 0
	v_mov_b32_e32 v9, 0
	v_cmp_eq_u32_e64 s0, s0, v30
	s_and_saveexec_b32 s1, s0
	s_cbranch_execz .LBB0_297
; %bb.292:
	v_mov_b32_e32 v3, 0
	s_mov_b32 s4, exec_lo
	global_load_dwordx2 v[6:7], v3, s[2:3] offset:24 glc dlc
	s_waitcnt vmcnt(0)
	buffer_gl1_inv
	buffer_gl0_inv
	s_clause 0x1
	global_load_dwordx2 v[4:5], v3, s[2:3] offset:40
	global_load_dwordx2 v[8:9], v3, s[2:3]
	s_waitcnt vmcnt(1)
	v_and_b32_e32 v5, v5, v7
	v_and_b32_e32 v4, v4, v6
	v_mul_lo_u32 v5, v5, 24
	v_mul_hi_u32 v10, v4, 24
	v_mul_lo_u32 v4, v4, 24
	v_add_nc_u32_e32 v5, v10, v5
	s_waitcnt vmcnt(0)
	v_add_co_u32 v4, vcc_lo, v8, v4
	v_add_co_ci_u32_e64 v5, null, v9, v5, vcc_lo
	global_load_dwordx2 v[4:5], v[4:5], off glc dlc
	s_waitcnt vmcnt(0)
	global_atomic_cmpswap_x2 v[8:9], v3, v[4:7], s[2:3] offset:24 glc
	s_waitcnt vmcnt(0)
	buffer_gl1_inv
	buffer_gl0_inv
	v_cmpx_ne_u64_e64 v[8:9], v[6:7]
	s_cbranch_execz .LBB0_296
; %bb.293:
	s_mov_b32 s5, 0
	.p2align	6
.LBB0_294:                              ; =>This Inner Loop Header: Depth=1
	s_sleep 1
	s_clause 0x1
	global_load_dwordx2 v[4:5], v3, s[2:3] offset:40
	global_load_dwordx2 v[10:11], v3, s[2:3]
	v_mov_b32_e32 v6, v8
	v_mov_b32_e32 v7, v9
	s_waitcnt vmcnt(1)
	v_and_b32_e32 v4, v4, v6
	v_and_b32_e32 v5, v5, v7
	s_waitcnt vmcnt(0)
	v_mad_u64_u32 v[8:9], null, v4, 24, v[10:11]
	v_mov_b32_e32 v4, v9
	v_mad_u64_u32 v[4:5], null, v5, 24, v[4:5]
	v_mov_b32_e32 v9, v4
	global_load_dwordx2 v[4:5], v[8:9], off glc dlc
	s_waitcnt vmcnt(0)
	global_atomic_cmpswap_x2 v[8:9], v3, v[4:7], s[2:3] offset:24 glc
	s_waitcnt vmcnt(0)
	buffer_gl1_inv
	buffer_gl0_inv
	v_cmp_eq_u64_e32 vcc_lo, v[8:9], v[6:7]
	s_or_b32 s5, vcc_lo, s5
	s_andn2_b32 exec_lo, exec_lo, s5
	s_cbranch_execnz .LBB0_294
; %bb.295:
	s_or_b32 exec_lo, exec_lo, s5
.LBB0_296:
	s_or_b32 exec_lo, exec_lo, s4
.LBB0_297:
	s_or_b32 exec_lo, exec_lo, s1
	v_mov_b32_e32 v3, 0
	v_readfirstlane_b32 s5, v9
	v_readfirstlane_b32 s4, v8
	s_mov_b32 s1, exec_lo
	s_clause 0x1
	global_load_dwordx2 v[10:11], v3, s[2:3] offset:40
	global_load_dwordx4 v[4:7], v3, s[2:3]
	s_waitcnt vmcnt(1)
	v_readfirstlane_b32 s6, v10
	v_readfirstlane_b32 s7, v11
	s_and_b64 s[6:7], s[6:7], s[4:5]
	s_mul_i32 s8, s7, 24
	s_mul_hi_u32 s9, s6, 24
	s_mul_i32 s10, s6, 24
	s_add_i32 s9, s9, s8
	s_waitcnt vmcnt(0)
	v_add_co_u32 v8, vcc_lo, v4, s10
	v_add_co_ci_u32_e64 v9, null, s9, v5, vcc_lo
	s_and_saveexec_b32 s8, s0
	s_cbranch_execz .LBB0_299
; %bb.298:
	v_mov_b32_e32 v10, s1
	v_mov_b32_e32 v11, v3
	;; [unrolled: 1-line block ×4, first 2 shown]
	global_store_dwordx4 v[8:9], v[10:13], off offset:8
.LBB0_299:
	s_or_b32 exec_lo, exec_lo, s8
	s_lshl_b64 s[6:7], s[6:7], 12
	s_mov_b32 s8, 0
	v_add_co_u32 v6, vcc_lo, v6, s6
	v_add_co_ci_u32_e64 v7, null, s7, v7, vcc_lo
	s_mov_b32 s11, s8
	s_mov_b32 s9, s8
	;; [unrolled: 1-line block ×3, first 2 shown]
	v_and_or_b32 v0, 0xffffff1d, v0, 34
	v_readfirstlane_b32 s6, v6
	v_readfirstlane_b32 s7, v7
	v_mov_b32_e32 v13, s11
	v_mov_b32_e32 v12, s10
	;; [unrolled: 1-line block ×4, first 2 shown]
	global_store_dwordx4 v29, v[0:3], s[6:7]
	global_store_dwordx4 v29, v[10:13], s[6:7] offset:16
	global_store_dwordx4 v29, v[10:13], s[6:7] offset:32
	;; [unrolled: 1-line block ×3, first 2 shown]
	s_and_saveexec_b32 s1, s0
	s_cbranch_execz .LBB0_307
; %bb.300:
	v_mov_b32_e32 v6, 0
	v_mov_b32_e32 v10, s4
	;; [unrolled: 1-line block ×3, first 2 shown]
	s_clause 0x1
	global_load_dwordx2 v[12:13], v6, s[2:3] offset:32 glc dlc
	global_load_dwordx2 v[0:1], v6, s[2:3] offset:40
	s_waitcnt vmcnt(0)
	v_readfirstlane_b32 s6, v0
	v_readfirstlane_b32 s7, v1
	s_and_b64 s[6:7], s[6:7], s[4:5]
	s_mul_i32 s7, s7, 24
	s_mul_hi_u32 s8, s6, 24
	s_mul_i32 s6, s6, 24
	s_add_i32 s8, s8, s7
	v_add_co_u32 v4, vcc_lo, v4, s6
	v_add_co_ci_u32_e64 v5, null, s8, v5, vcc_lo
	s_mov_b32 s6, exec_lo
	global_store_dwordx2 v[4:5], v[12:13], off
	s_waitcnt_vscnt null, 0x0
	global_atomic_cmpswap_x2 v[2:3], v6, v[10:13], s[2:3] offset:32 glc
	s_waitcnt vmcnt(0)
	v_cmpx_ne_u64_e64 v[2:3], v[12:13]
	s_cbranch_execz .LBB0_303
; %bb.301:
	s_mov_b32 s7, 0
.LBB0_302:                              ; =>This Inner Loop Header: Depth=1
	v_mov_b32_e32 v0, s4
	v_mov_b32_e32 v1, s5
	s_sleep 1
	global_store_dwordx2 v[4:5], v[2:3], off
	s_waitcnt_vscnt null, 0x0
	global_atomic_cmpswap_x2 v[0:1], v6, v[0:3], s[2:3] offset:32 glc
	s_waitcnt vmcnt(0)
	v_cmp_eq_u64_e32 vcc_lo, v[0:1], v[2:3]
	v_mov_b32_e32 v3, v1
	v_mov_b32_e32 v2, v0
	s_or_b32 s7, vcc_lo, s7
	s_andn2_b32 exec_lo, exec_lo, s7
	s_cbranch_execnz .LBB0_302
.LBB0_303:
	s_or_b32 exec_lo, exec_lo, s6
	v_mov_b32_e32 v3, 0
	s_mov_b32 s7, exec_lo
	s_mov_b32 s6, exec_lo
	v_mbcnt_lo_u32_b32 v2, s7, 0
	global_load_dwordx2 v[0:1], v3, s[2:3] offset:16
	v_cmpx_eq_u32_e32 0, v2
	s_cbranch_execz .LBB0_305
; %bb.304:
	s_bcnt1_i32_b32 s7, s7
	v_mov_b32_e32 v2, s7
	s_waitcnt vmcnt(0)
	global_atomic_add_x2 v[0:1], v[2:3], off offset:8
.LBB0_305:
	s_or_b32 exec_lo, exec_lo, s6
	s_waitcnt vmcnt(0)
	global_load_dwordx2 v[2:3], v[0:1], off offset:16
	s_waitcnt vmcnt(0)
	v_cmp_eq_u64_e32 vcc_lo, 0, v[2:3]
	s_cbranch_vccnz .LBB0_307
; %bb.306:
	global_load_dword v0, v[0:1], off offset:24
	v_mov_b32_e32 v1, 0
	s_waitcnt vmcnt(0)
	v_readfirstlane_b32 s6, v0
	s_waitcnt_vscnt null, 0x0
	global_store_dwordx2 v[2:3], v[0:1], off
	s_and_b32 m0, s6, 0x7fffff
	s_sendmsg sendmsg(MSG_INTERRUPT)
.LBB0_307:
	s_or_b32 exec_lo, exec_lo, s1
	s_branch .LBB0_311
	.p2align	6
.LBB0_308:                              ;   in Loop: Header=BB0_311 Depth=1
	s_or_b32 exec_lo, exec_lo, s1
	v_readfirstlane_b32 s1, v0
	s_cmp_eq_u32 s1, 0
	s_cbranch_scc1 .LBB0_310
; %bb.309:                              ;   in Loop: Header=BB0_311 Depth=1
	s_sleep 1
	s_cbranch_execnz .LBB0_311
	s_branch .LBB0_313
	.p2align	6
.LBB0_310:
	s_branch .LBB0_313
.LBB0_311:                              ; =>This Inner Loop Header: Depth=1
	v_mov_b32_e32 v0, 1
	s_and_saveexec_b32 s1, s0
	s_cbranch_execz .LBB0_308
; %bb.312:                              ;   in Loop: Header=BB0_311 Depth=1
	global_load_dword v0, v[8:9], off offset:20 glc dlc
	s_waitcnt vmcnt(0)
	buffer_gl1_inv
	buffer_gl0_inv
	v_and_b32_e32 v0, 1, v0
	s_branch .LBB0_308
.LBB0_313:
	s_and_saveexec_b32 s1, s0
	s_cbranch_execz .LBB0_317
; %bb.314:
	v_mov_b32_e32 v6, 0
	s_clause 0x2
	global_load_dwordx2 v[0:1], v6, s[2:3] offset:40
	global_load_dwordx2 v[9:10], v6, s[2:3] offset:24 glc dlc
	global_load_dwordx2 v[2:3], v6, s[2:3]
	s_waitcnt vmcnt(2)
	v_readfirstlane_b32 s6, v0
	v_readfirstlane_b32 s7, v1
	s_add_u32 s8, s6, 1
	s_addc_u32 s9, s7, 0
	s_add_u32 s0, s8, s4
	s_addc_u32 s1, s9, s5
	s_cmp_eq_u64 s[0:1], 0
	s_cselect_b32 s1, s9, s1
	s_cselect_b32 s0, s8, s0
	v_mov_b32_e32 v8, s1
	s_and_b64 s[4:5], s[0:1], s[6:7]
	v_mov_b32_e32 v7, s0
	s_mul_i32 s5, s5, 24
	s_mul_hi_u32 s6, s4, 24
	s_mul_i32 s4, s4, 24
	s_add_i32 s6, s6, s5
	s_waitcnt vmcnt(0)
	v_add_co_u32 v4, vcc_lo, v2, s4
	v_add_co_ci_u32_e64 v5, null, s6, v3, vcc_lo
	global_store_dwordx2 v[4:5], v[9:10], off
	s_waitcnt_vscnt null, 0x0
	global_atomic_cmpswap_x2 v[2:3], v6, v[7:10], s[2:3] offset:24 glc
	s_waitcnt vmcnt(0)
	v_cmp_ne_u64_e32 vcc_lo, v[2:3], v[9:10]
	s_and_b32 exec_lo, exec_lo, vcc_lo
	s_cbranch_execz .LBB0_317
; %bb.315:
	s_mov_b32 s4, 0
.LBB0_316:                              ; =>This Inner Loop Header: Depth=1
	v_mov_b32_e32 v0, s0
	v_mov_b32_e32 v1, s1
	s_sleep 1
	global_store_dwordx2 v[4:5], v[2:3], off
	s_waitcnt_vscnt null, 0x0
	global_atomic_cmpswap_x2 v[0:1], v6, v[0:3], s[2:3] offset:24 glc
	s_waitcnt vmcnt(0)
	v_cmp_eq_u64_e32 vcc_lo, v[0:1], v[2:3]
	v_mov_b32_e32 v3, v1
	v_mov_b32_e32 v2, v0
	s_or_b32 s4, vcc_lo, s4
	s_andn2_b32 exec_lo, exec_lo, s4
	s_cbranch_execnz .LBB0_316
.LBB0_317:
	s_endpgm
	.section	.rodata,"a",@progbits
	.p2align	6, 0x0
	.amdhsa_kernel _Z17helloworld_kernelv
		.amdhsa_group_segment_fixed_size 0
		.amdhsa_private_segment_fixed_size 0
		.amdhsa_kernarg_size 256
		.amdhsa_user_sgpr_count 6
		.amdhsa_user_sgpr_private_segment_buffer 1
		.amdhsa_user_sgpr_dispatch_ptr 0
		.amdhsa_user_sgpr_queue_ptr 0
		.amdhsa_user_sgpr_kernarg_segment_ptr 1
		.amdhsa_user_sgpr_dispatch_id 0
		.amdhsa_user_sgpr_flat_scratch_init 0
		.amdhsa_user_sgpr_private_segment_size 0
		.amdhsa_wavefront_size32 1
		.amdhsa_uses_dynamic_stack 0
		.amdhsa_system_sgpr_private_segment_wavefront_offset 0
		.amdhsa_system_sgpr_workgroup_id_x 1
		.amdhsa_system_sgpr_workgroup_id_y 0
		.amdhsa_system_sgpr_workgroup_id_z 0
		.amdhsa_system_sgpr_workgroup_info 0
		.amdhsa_system_vgpr_workitem_id 0
		.amdhsa_next_free_vgpr 34
		.amdhsa_next_free_sgpr 20
		.amdhsa_reserve_vcc 1
		.amdhsa_reserve_flat_scratch 0
		.amdhsa_float_round_mode_32 0
		.amdhsa_float_round_mode_16_64 0
		.amdhsa_float_denorm_mode_32 3
		.amdhsa_float_denorm_mode_16_64 3
		.amdhsa_dx10_clamp 1
		.amdhsa_ieee_mode 1
		.amdhsa_fp16_overflow 0
		.amdhsa_workgroup_processor_mode 1
		.amdhsa_memory_ordered 1
		.amdhsa_forward_progress 1
		.amdhsa_shared_vgpr_count 0
		.amdhsa_exception_fp_ieee_invalid_op 0
		.amdhsa_exception_fp_denorm_src 0
		.amdhsa_exception_fp_ieee_div_zero 0
		.amdhsa_exception_fp_ieee_overflow 0
		.amdhsa_exception_fp_ieee_underflow 0
		.amdhsa_exception_fp_ieee_inexact 0
		.amdhsa_exception_int_div_zero 0
	.end_amdhsa_kernel
	.text
.Lfunc_end0:
	.size	_Z17helloworld_kernelv, .Lfunc_end0-_Z17helloworld_kernelv
                                        ; -- End function
	.set _Z17helloworld_kernelv.num_vgpr, 34
	.set _Z17helloworld_kernelv.num_agpr, 0
	.set _Z17helloworld_kernelv.numbered_sgpr, 20
	.set _Z17helloworld_kernelv.num_named_barrier, 0
	.set _Z17helloworld_kernelv.private_seg_size, 0
	.set _Z17helloworld_kernelv.uses_vcc, 1
	.set _Z17helloworld_kernelv.uses_flat_scratch, 0
	.set _Z17helloworld_kernelv.has_dyn_sized_stack, 0
	.set _Z17helloworld_kernelv.has_recursion, 0
	.set _Z17helloworld_kernelv.has_indirect_call, 0
	.section	.AMDGPU.csdata,"",@progbits
; Kernel info:
; codeLenInByte = 12700
; TotalNumSgprs: 22
; NumVgprs: 34
; ScratchSize: 0
; MemoryBound: 0
; FloatMode: 240
; IeeeMode: 1
; LDSByteSize: 0 bytes/workgroup (compile time only)
; SGPRBlocks: 0
; VGPRBlocks: 4
; NumSGPRsForWavesPerEU: 22
; NumVGPRsForWavesPerEU: 34
; Occupancy: 16
; WaveLimiterHint : 1
; COMPUTE_PGM_RSRC2:SCRATCH_EN: 0
; COMPUTE_PGM_RSRC2:USER_SGPR: 6
; COMPUTE_PGM_RSRC2:TRAP_HANDLER: 0
; COMPUTE_PGM_RSRC2:TGID_X_EN: 1
; COMPUTE_PGM_RSRC2:TGID_Y_EN: 0
; COMPUTE_PGM_RSRC2:TGID_Z_EN: 0
; COMPUTE_PGM_RSRC2:TIDIG_COMP_CNT: 0
	.text
	.p2alignl 6, 3214868480
	.fill 48, 4, 3214868480
	.section	.AMDGPU.gpr_maximums,"",@progbits
	.set amdgpu.max_num_vgpr, 0
	.set amdgpu.max_num_agpr, 0
	.set amdgpu.max_num_sgpr, 0
	.text
	.type	.str,@object                    ; @.str
	.section	.rodata.str1.1,"aMS",@progbits,1
.str:
	.asciz	"Hello world from device or host!\n"
	.size	.str, 34

	.type	.str.1,@object                  ; @.str.1
.str.1:
	.asciz	"Hello world from device kernel block %u thread %u!\n"
	.size	.str.1, 52

	.type	__hip_cuid_ee70785a1fb9e74c,@object ; @__hip_cuid_ee70785a1fb9e74c
	.section	.bss,"aw",@nobits
	.globl	__hip_cuid_ee70785a1fb9e74c
__hip_cuid_ee70785a1fb9e74c:
	.byte	0                               ; 0x0
	.size	__hip_cuid_ee70785a1fb9e74c, 1

	.ident	"AMD clang version 22.0.0git (https://github.com/RadeonOpenCompute/llvm-project roc-7.2.4 26084 f58b06dce1f9c15707c5f808fd002e18c2accf7e)"
	.section	".note.GNU-stack","",@progbits
	.addrsig
	.addrsig_sym __hip_cuid_ee70785a1fb9e74c
	.amdgpu_metadata
---
amdhsa.kernels:
  - .args:
      - .offset:         0
        .size:           4
        .value_kind:     hidden_block_count_x
      - .offset:         4
        .size:           4
        .value_kind:     hidden_block_count_y
      - .offset:         8
        .size:           4
        .value_kind:     hidden_block_count_z
      - .offset:         12
        .size:           2
        .value_kind:     hidden_group_size_x
      - .offset:         14
        .size:           2
        .value_kind:     hidden_group_size_y
      - .offset:         16
        .size:           2
        .value_kind:     hidden_group_size_z
      - .offset:         18
        .size:           2
        .value_kind:     hidden_remainder_x
      - .offset:         20
        .size:           2
        .value_kind:     hidden_remainder_y
      - .offset:         22
        .size:           2
        .value_kind:     hidden_remainder_z
      - .offset:         40
        .size:           8
        .value_kind:     hidden_global_offset_x
      - .offset:         48
        .size:           8
        .value_kind:     hidden_global_offset_y
      - .offset:         56
        .size:           8
        .value_kind:     hidden_global_offset_z
      - .offset:         64
        .size:           2
        .value_kind:     hidden_grid_dims
      - .offset:         80
        .size:           8
        .value_kind:     hidden_hostcall_buffer
    .group_segment_fixed_size: 0
    .kernarg_segment_align: 8
    .kernarg_segment_size: 256
    .language:       OpenCL C
    .language_version:
      - 2
      - 0
    .max_flat_workgroup_size: 1024
    .name:           _Z17helloworld_kernelv
    .private_segment_fixed_size: 0
    .sgpr_count:     22
    .sgpr_spill_count: 0
    .symbol:         _Z17helloworld_kernelv.kd
    .uniform_work_group_size: 1
    .uses_dynamic_stack: false
    .vgpr_count:     34
    .vgpr_spill_count: 0
    .wavefront_size: 32
    .workgroup_processor_mode: 1
amdhsa.target:   amdgcn-amd-amdhsa--gfx1030
amdhsa.version:
  - 1
  - 2
...

	.end_amdgpu_metadata
